;; amdgpu-corpus repo=ROCm/rocFFT kind=compiled arch=gfx1201 opt=O3
	.text
	.amdgcn_target "amdgcn-amd-amdhsa--gfx1201"
	.amdhsa_code_object_version 6
	.protected	bluestein_single_back_len1768_dim1_sp_op_CI_CI ; -- Begin function bluestein_single_back_len1768_dim1_sp_op_CI_CI
	.globl	bluestein_single_back_len1768_dim1_sp_op_CI_CI
	.p2align	8
	.type	bluestein_single_back_len1768_dim1_sp_op_CI_CI,@function
bluestein_single_back_len1768_dim1_sp_op_CI_CI: ; @bluestein_single_back_len1768_dim1_sp_op_CI_CI
; %bb.0:
	s_load_b128 s[4:7], s[0:1], 0x28
	v_mul_u32_u24_e32 v1, 0x1e2, v0
	s_mov_b32 s2, exec_lo
	v_mov_b32_e32 v89, 0
	s_delay_alu instid0(VALU_DEP_2) | instskip(NEXT) | instid1(VALU_DEP_1)
	v_lshrrev_b32_e32 v1, 16, v1
	v_add_nc_u32_e32 v88, ttmp9, v1
	s_wait_kmcnt 0x0
	s_delay_alu instid0(VALU_DEP_1)
	v_cmpx_gt_u64_e64 s[4:5], v[88:89]
	s_cbranch_execz .LBB0_23
; %bb.1:
	v_mul_lo_u16 v1, 0x88, v1
	s_clause 0x1
	s_load_b64 s[12:13], s[0:1], 0x0
	s_load_b64 s[14:15], s[0:1], 0x38
	s_delay_alu instid0(VALU_DEP_1) | instskip(NEXT) | instid1(VALU_DEP_1)
	v_sub_nc_u16 v0, v0, v1
	v_and_b32_e32 v97, 0xffff, v0
	v_cmp_gt_u16_e32 vcc_lo, 0x68, v0
	s_delay_alu instid0(VALU_DEP_2)
	v_lshlrev_b32_e32 v96, 3, v97
	v_or_b32_e32 v95, 0x680, v97
	s_and_saveexec_b32 s3, vcc_lo
	s_cbranch_execz .LBB0_3
; %bb.2:
	s_load_b64 s[4:5], s[0:1], 0x18
	v_add_nc_u32_e32 v72, 0x400, v96
	s_wait_kmcnt 0x0
	s_load_b128 s[8:11], s[4:5], 0x0
	s_clause 0x7
	global_load_b64 v[4:5], v96, s[12:13]
	global_load_b64 v[6:7], v96, s[12:13] offset:832
	global_load_b64 v[8:9], v96, s[12:13] offset:1664
	;; [unrolled: 1-line block ×7, first 2 shown]
	s_wait_kmcnt 0x0
	v_mad_co_u64_u32 v[0:1], null, s10, v88, 0
	v_mad_co_u64_u32 v[2:3], null, s8, v97, 0
	s_mul_u64 s[4:5], s[8:9], 0x340
	s_delay_alu instid0(VALU_DEP_1) | instskip(SKIP_1) | instid1(VALU_DEP_1)
	v_mad_co_u64_u32 v[20:21], null, s11, v88, v[1:2]
	v_mad_co_u64_u32 v[21:22], null, s8, v95, 0
	v_dual_mov_b32 v1, v20 :: v_dual_mov_b32 v20, v22
	s_delay_alu instid0(VALU_DEP_1)
	v_lshlrev_b64_e32 v[0:1], 3, v[0:1]
	s_wait_loadcnt 0x7
	v_mad_co_u64_u32 v[23:24], null, s9, v97, v[3:4]
	s_clause 0x6
	global_load_b64 v[24:25], v96, s[12:13] offset:6656
	global_load_b64 v[26:27], v96, s[12:13] offset:7488
	global_load_b64 v[28:29], v96, s[12:13] offset:8320
	global_load_b64 v[30:31], v96, s[12:13] offset:9152
	global_load_b64 v[32:33], v96, s[12:13] offset:9984
	global_load_b64 v[34:35], v96, s[12:13] offset:10816
	global_load_b64 v[36:37], v96, s[12:13] offset:13312
	v_mov_b32_e32 v3, v23
	v_mad_co_u64_u32 v[22:23], null, s9, v95, v[20:21]
	v_add_co_u32 v23, s2, s6, v0
	s_delay_alu instid0(VALU_DEP_3) | instskip(SKIP_1) | instid1(VALU_DEP_2)
	v_lshlrev_b64_e32 v[2:3], 3, v[2:3]
	v_add_co_ci_u32_e64 v38, s2, s7, v1, s2
	v_add_co_u32 v0, s2, v23, v2
	s_wait_alu 0xf1ff
	s_delay_alu instid0(VALU_DEP_2)
	v_add_co_ci_u32_e64 v1, s2, v38, v3, s2
	v_lshlrev_b64_e32 v[2:3], 3, v[21:22]
	s_wait_alu 0xfffe
	v_add_co_u32 v20, s2, v0, s4
	s_wait_alu 0xf1ff
	v_add_co_ci_u32_e64 v21, s2, s5, v1, s2
	global_load_b64 v[0:1], v[0:1], off
	v_add_co_u32 v2, s2, v23, v2
	s_wait_alu 0xf1ff
	v_add_co_ci_u32_e64 v3, s2, v38, v3, s2
	v_add_co_u32 v22, s2, v20, s4
	s_wait_alu 0xf1ff
	v_add_co_ci_u32_e64 v23, s2, s5, v21, s2
	global_load_b64 v[2:3], v[2:3], off
	v_add_co_u32 v38, s2, v22, s4
	s_wait_alu 0xf1ff
	v_add_co_ci_u32_e64 v39, s2, s5, v23, s2
	v_add_nc_u32_e32 v73, 0xc00, v96
	s_delay_alu instid0(VALU_DEP_3) | instskip(SKIP_1) | instid1(VALU_DEP_3)
	v_add_co_u32 v40, s2, v38, s4
	s_wait_alu 0xf1ff
	v_add_co_ci_u32_e64 v41, s2, s5, v39, s2
	s_clause 0x2
	global_load_b64 v[20:21], v[20:21], off
	global_load_b64 v[22:23], v[22:23], off
	global_load_b64 v[38:39], v[38:39], off
	v_add_co_u32 v42, s2, v40, s4
	s_wait_alu 0xf1ff
	v_add_co_ci_u32_e64 v43, s2, s5, v41, s2
	global_load_b64 v[40:41], v[40:41], off
	v_add_co_u32 v44, s2, v42, s4
	s_wait_alu 0xf1ff
	v_add_co_ci_u32_e64 v45, s2, s5, v43, s2
	global_load_b64 v[42:43], v[42:43], off
	;; [unrolled: 4-line block ×11, first 2 shown]
	s_clause 0x1
	global_load_b64 v[64:65], v96, s[12:13] offset:11648
	global_load_b64 v[66:67], v96, s[12:13] offset:12480
	global_load_b64 v[62:63], v[62:63], off
	v_add_nc_u32_e32 v74, 0x1000, v96
	v_add_nc_u32_e32 v75, 0x1800, v96
	;; [unrolled: 1-line block ×5, first 2 shown]
	s_wait_loadcnt 0x12
	v_mul_f32_e32 v68, v1, v5
	v_mul_f32_e32 v5, v0, v5
	s_delay_alu instid0(VALU_DEP_2) | instskip(NEXT) | instid1(VALU_DEP_2)
	v_fmac_f32_e32 v68, v0, v4
	v_fma_f32 v69, v1, v4, -v5
	s_wait_loadcnt 0x11
	v_mul_f32_e32 v70, v3, v37
	v_mul_f32_e32 v37, v2, v37
	s_delay_alu instid0(VALU_DEP_2) | instskip(NEXT) | instid1(VALU_DEP_2)
	v_fmac_f32_e32 v70, v2, v36
	v_fma_f32 v71, v3, v36, -v37
	s_wait_loadcnt 0x10
	v_mul_f32_e32 v0, v21, v7
	s_wait_loadcnt 0xf
	v_dual_mul_f32 v1, v20, v7 :: v_dual_mul_f32 v2, v23, v9
	s_wait_loadcnt 0xe
	v_mul_f32_e32 v5, v38, v11
	v_dual_mul_f32 v3, v22, v9 :: v_dual_mul_f32 v4, v39, v11
	v_fmac_f32_e32 v0, v20, v6
	v_fma_f32 v1, v21, v6, -v1
	v_fmac_f32_e32 v2, v22, v8
	s_delay_alu instid0(VALU_DEP_4)
	v_fma_f32 v3, v23, v8, -v3
	s_wait_loadcnt 0xd
	v_mul_f32_e32 v6, v41, v13
	s_wait_loadcnt 0xc
	v_dual_mul_f32 v7, v40, v13 :: v_dual_mul_f32 v8, v43, v15
	v_mul_f32_e32 v9, v42, v15
	v_fmac_f32_e32 v4, v38, v10
	v_fma_f32 v5, v39, v10, -v5
	s_delay_alu instid0(VALU_DEP_4)
	v_fma_f32 v7, v41, v12, -v7
	ds_store_2addr_b64 v96, v[68:69], v[0:1] offset1:104
	ds_store_2addr_b64 v72, v[2:3], v[4:5] offset0:80 offset1:184
	v_fma_f32 v9, v43, v14, -v9
	s_wait_loadcnt 0xa
	v_dual_mul_f32 v0, v45, v17 :: v_dual_mul_f32 v3, v46, v19
	v_fmac_f32_e32 v6, v40, v12
	v_dual_mul_f32 v1, v44, v17 :: v_dual_mul_f32 v2, v47, v19
	s_wait_loadcnt 0x9
	v_mul_f32_e32 v4, v49, v25
	v_mul_f32_e32 v5, v48, v25
	s_delay_alu instid0(VALU_DEP_3) | instskip(SKIP_2) | instid1(VALU_DEP_4)
	v_fma_f32 v1, v45, v16, -v1
	v_fmac_f32_e32 v2, v46, v18
	v_fma_f32 v3, v47, v18, -v3
	v_fma_f32 v5, v49, v24, -v5
	s_wait_loadcnt 0x6
	v_mul_f32_e32 v10, v55, v31
	v_dual_mul_f32 v11, v54, v31 :: v_dual_fmac_f32 v0, v44, v16
	s_wait_loadcnt 0x5
	v_dual_mul_f32 v13, v56, v33 :: v_dual_fmac_f32 v8, v42, v14
	v_mul_f32_e32 v12, v57, v33
	v_fmac_f32_e32 v10, v54, v30
	v_fma_f32 v11, v55, v30, -v11
	s_wait_loadcnt 0x4
	v_mul_f32_e32 v14, v59, v35
	v_dual_mul_f32 v15, v58, v35 :: v_dual_fmac_f32 v12, v56, v32
	s_wait_loadcnt 0x2
	v_mul_f32_e32 v17, v60, v65
	ds_store_2addr_b64 v73, v[6:7], v[8:9] offset0:32 offset1:136
	v_mul_f32_e32 v6, v51, v27
	v_dual_mul_f32 v7, v50, v27 :: v_dual_mul_f32 v8, v53, v29
	v_mul_f32_e32 v9, v52, v29
	v_mul_f32_e32 v16, v61, v65
	s_wait_loadcnt 0x0
	v_mul_f32_e32 v18, v63, v67
	v_dual_mul_f32 v19, v62, v67 :: v_dual_fmac_f32 v4, v48, v24
	v_fmac_f32_e32 v6, v50, v26
	v_fma_f32 v7, v51, v26, -v7
	v_fmac_f32_e32 v8, v52, v28
	v_fma_f32 v9, v53, v28, -v9
	v_fma_f32 v13, v57, v32, -v13
	v_fmac_f32_e32 v14, v58, v34
	v_fma_f32 v15, v59, v34, -v15
	v_fmac_f32_e32 v16, v60, v64
	;; [unrolled: 2-line block ×3, first 2 shown]
	v_fma_f32 v19, v63, v66, -v19
	ds_store_2addr_b64 v74, v[0:1], v[2:3] offset0:112 offset1:216
	ds_store_2addr_b64 v75, v[4:5], v[6:7] offset0:64 offset1:168
	;; [unrolled: 1-line block ×5, first 2 shown]
	ds_store_b64 v96, v[70:71] offset:13312
.LBB0_3:
	s_or_b32 exec_lo, exec_lo, s3
	s_clause 0x1
	s_load_b64 s[4:5], s[0:1], 0x20
	s_load_b64 s[2:3], s[0:1], 0x8
	v_mov_b32_e32 v0, 0
	v_mov_b32_e32 v1, 0
	global_wb scope:SCOPE_SE
	s_wait_dscnt 0x0
	s_wait_kmcnt 0x0
	s_barrier_signal -1
	s_barrier_wait -1
	global_inv scope:SCOPE_SE
                                        ; implicit-def: $vgpr6
                                        ; implicit-def: $vgpr32
                                        ; implicit-def: $vgpr10
                                        ; implicit-def: $vgpr14
                                        ; implicit-def: $vgpr22
                                        ; implicit-def: $vgpr30
                                        ; implicit-def: $vgpr18
                                        ; implicit-def: $vgpr26
	s_and_saveexec_b32 s0, vcc_lo
	s_cbranch_execz .LBB0_5
; %bb.4:
	v_add_nc_u32_e32 v4, 0x400, v96
	v_add_nc_u32_e32 v5, 0xc00, v96
	;; [unrolled: 1-line block ×3, first 2 shown]
	ds_load_2addr_b64 v[0:3], v96 offset1:104
	v_add_nc_u32_e32 v7, 0x2400, v96
	ds_load_2addr_b64 v[24:27], v4 offset0:80 offset1:184
	ds_load_2addr_b64 v[16:19], v5 offset0:32 offset1:136
	v_add_nc_u32_e32 v4, 0x1800, v96
	v_add_nc_u32_e32 v5, 0x2000, v96
	;; [unrolled: 1-line block ×3, first 2 shown]
	ds_load_2addr_b64 v[28:31], v6 offset0:112 offset1:216
	ds_load_2addr_b64 v[20:23], v4 offset0:64 offset1:168
	;; [unrolled: 1-line block ×5, first 2 shown]
	ds_load_b64 v[32:33], v96 offset:13312
.LBB0_5:
	s_wait_alu 0xfffe
	s_or_b32 exec_lo, exec_lo, s0
	s_wait_dscnt 0x0
	v_dual_sub_f32 v38, v3, v33 :: v_dual_sub_f32 v93, v2, v32
	v_dual_add_f32 v83, v32, v2 :: v_dual_add_f32 v84, v33, v3
	v_dual_sub_f32 v40, v25, v7 :: v_dual_add_f32 v85, v6, v24
	s_delay_alu instid0(VALU_DEP_3) | instskip(SKIP_2) | instid1(VALU_DEP_4)
	v_dual_mul_f32 v42, 0xbeb8f4ab, v38 :: v_dual_mul_f32 v43, 0xbeb8f4ab, v93
	v_dual_mul_f32 v53, 0xbf2c7751, v38 :: v_dual_mul_f32 v58, 0xbf2c7751, v93
	v_sub_f32_e32 v103, v24, v6
	v_dual_add_f32 v87, v7, v25 :: v_dual_mul_f32 v44, 0xbf2c7751, v40
	s_delay_alu instid0(VALU_DEP_3) | instskip(NEXT) | instid1(VALU_DEP_4)
	v_fmamk_f32 v36, v83, 0x3f3d2fb0, v53
	v_fma_f32 v37, 0x3f3d2fb0, v84, -v58
	v_fmamk_f32 v34, v83, 0x3f6eb680, v42
	v_dual_mul_f32 v59, 0xbf7ee86f, v40 :: v_dual_mul_f32 v62, 0xbf7ee86f, v103
	v_fma_f32 v35, 0x3f6eb680, v84, -v43
	v_dual_add_f32 v36, v36, v0 :: v_dual_mul_f32 v65, 0xbf65296c, v38
	s_delay_alu instid0(VALU_DEP_4) | instskip(NEXT) | instid1(VALU_DEP_3)
	v_dual_add_f32 v37, v37, v1 :: v_dual_add_f32 v34, v34, v0
	v_add_f32_e32 v35, v35, v1
	v_fmamk_f32 v47, v85, 0x3dbcf732, v59
	v_fmamk_f32 v41, v85, 0x3f3d2fb0, v44
	v_fma_f32 v48, 0x3dbcf732, v87, -v62
	v_dual_add_f32 v98, v5, v27 :: v_dual_fmamk_f32 v39, v83, 0x3ee437d1, v65
	v_add_f32_e32 v94, v4, v26
	v_dual_add_f32 v36, v47, v36 :: v_dual_mul_f32 v45, 0xbf2c7751, v103
	v_dual_add_f32 v34, v41, v34 :: v_dual_mul_f32 v73, 0xbf4c4adb, v40
	v_sub_f32_e32 v107, v26, v4
	v_add_f32_e32 v37, v48, v37
	s_delay_alu instid0(VALU_DEP_4) | instskip(SKIP_4) | instid1(VALU_DEP_3)
	v_fma_f32 v46, 0x3f3d2fb0, v87, -v45
	v_sub_f32_e32 v142, v17, v11
	v_dual_fmamk_f32 v48, v85, 0xbf1a4643, v73 :: v_dual_sub_f32 v41, v27, v5
	v_mul_f32_e32 v68, 0xbf4c4adb, v107
	v_dual_mul_f32 v47, 0xbf65296c, v107 :: v_dual_sub_f32 v112, v16, v10
	v_dual_add_f32 v35, v46, v35 :: v_dual_mul_f32 v46, 0xbf65296c, v41
	v_mul_f32_e32 v63, 0xbf4c4adb, v41
	s_delay_alu instid0(VALU_DEP_3) | instskip(SKIP_3) | instid1(VALU_DEP_4)
	v_fma_f32 v50, 0x3ee437d1, v98, -v47
	v_fma_f32 v52, 0xbf1a4643, v98, -v68
	v_dual_mul_f32 v74, 0xbf65296c, v93 :: v_dual_add_f32 v39, v39, v0
	v_dual_fmamk_f32 v49, v94, 0x3ee437d1, v46 :: v_dual_add_f32 v102, v11, v17
	v_add_f32_e32 v35, v50, v35
	s_delay_alu instid0(VALU_DEP_4)
	v_dual_add_f32 v37, v52, v37 :: v_dual_mul_f32 v56, 0xbf7ee86f, v112
	v_dual_add_f32 v101, v10, v16 :: v_dual_sub_f32 v144, v19, v9
	v_dual_mul_f32 v52, 0xbf7ee86f, v142 :: v_dual_add_f32 v39, v48, v39
	v_mul_f32_e32 v78, 0x3e3c28d5, v41
	v_add_f32_e32 v34, v49, v34
	v_fma_f32 v50, 0x3dbcf732, v102, -v56
	s_delay_alu instid0(VALU_DEP_4) | instskip(SKIP_3) | instid1(VALU_DEP_4)
	v_fmamk_f32 v49, v101, 0x3dbcf732, v52
	v_fmamk_f32 v51, v94, 0xbf1a4643, v63
	v_dual_mul_f32 v69, 0xbe3c28d5, v142 :: v_dual_mul_f32 v72, 0xbe3c28d5, v112
	v_fmamk_f32 v48, v94, 0xbf7ba420, v78
	v_dual_add_f32 v34, v49, v34 :: v_dual_add_f32 v35, v50, v35
	v_dual_add_f32 v104, v8, v18 :: v_dual_mul_f32 v57, 0xbf763a35, v144
	s_delay_alu instid0(VALU_DEP_4) | instskip(NEXT) | instid1(VALU_DEP_4)
	v_dual_add_f32 v36, v51, v36 :: v_dual_fmamk_f32 v51, v101, 0xbf7ba420, v69
	v_dual_add_f32 v39, v48, v39 :: v_dual_mul_f32 v66, 0x3f06c442, v144
	s_delay_alu instid0(VALU_DEP_3) | instskip(NEXT) | instid1(VALU_DEP_3)
	v_dual_fmamk_f32 v49, v104, 0xbe8c1d8e, v57 :: v_dual_add_f32 v108, v15, v29
	v_add_f32_e32 v36, v51, v36
	v_fma_f32 v54, 0xbf7ba420, v102, -v72
	v_dual_add_f32 v105, v9, v19 :: v_dual_mul_f32 v86, 0x3f2c7751, v144
	s_delay_alu instid0(VALU_DEP_4) | instskip(SKIP_2) | instid1(VALU_DEP_3)
	v_dual_add_f32 v34, v49, v34 :: v_dual_fmamk_f32 v51, v104, 0xbf59a7d5, v66
	v_dual_mul_f32 v81, 0x3f763a35, v142 :: v_dual_add_f32 v106, v14, v28
	v_dual_sub_f32 v145, v31, v13 :: v_dual_mul_f32 v122, 0xbf4c4adb, v103
	v_add_f32_e32 v36, v51, v36
	s_delay_alu instid0(VALU_DEP_3) | instskip(SKIP_3) | instid1(VALU_DEP_4)
	v_dual_sub_f32 v115, v18, v8 :: v_dual_fmamk_f32 v48, v101, 0xbe8c1d8e, v81
	v_sub_f32_e32 v143, v29, v15
	v_add_f32_e32 v37, v54, v37
	v_dual_sub_f32 v119, v30, v12 :: v_dual_mul_f32 v100, 0xbf7ee86f, v145
	v_mul_f32_e32 v77, 0x3f06c442, v115
	s_delay_alu instid0(VALU_DEP_4) | instskip(SKIP_1) | instid1(VALU_DEP_4)
	v_mul_f32_e32 v71, 0x3f763a35, v143
	v_dual_mul_f32 v60, 0xbf763a35, v115 :: v_dual_sub_f32 v117, v28, v14
	v_mul_f32_e32 v70, 0xbf06c442, v119
	s_delay_alu instid0(VALU_DEP_4) | instskip(NEXT) | instid1(VALU_DEP_4)
	v_fma_f32 v54, 0xbf59a7d5, v105, -v77
	v_dual_fmamk_f32 v51, v106, 0xbe8c1d8e, v71 :: v_dual_sub_f32 v124, v20, v22
	s_delay_alu instid0(VALU_DEP_4) | instskip(SKIP_1) | instid1(VALU_DEP_4)
	v_fma_f32 v50, 0xbe8c1d8e, v105, -v60
	v_dual_add_f32 v39, v48, v39 :: v_dual_mul_f32 v64, 0xbf4c4adb, v117
	v_dual_add_f32 v37, v54, v37 :: v_dual_fmamk_f32 v48, v104, 0x3f3d2fb0, v86
	s_delay_alu instid0(VALU_DEP_4) | instskip(NEXT) | instid1(VALU_DEP_4)
	v_dual_add_f32 v36, v51, v36 :: v_dual_mul_f32 v99, 0xbeb8f4ab, v143
	v_dual_add_f32 v114, v23, v21 :: v_dual_add_f32 v35, v50, v35
	v_mul_f32_e32 v82, 0x3f763a35, v117
	v_mul_f32_e32 v61, 0xbf4c4adb, v143
	v_fma_f32 v50, 0xbf1a4643, v108, -v64
	v_dual_add_f32 v39, v48, v39 :: v_dual_fmamk_f32 v48, v106, 0x3f6eb680, v99
	v_dual_add_f32 v109, v12, v30 :: v_dual_mul_f32 v92, 0x3eb8f4ab, v124
	v_mul_f32_e32 v75, 0x3f65296c, v145
	v_dual_fmamk_f32 v49, v106, 0xbf1a4643, v61 :: v_dual_sub_f32 v146, v21, v23
	v_fma_f32 v54, 0xbe8c1d8e, v108, -v82
	v_add_f32_e32 v35, v50, v35
	s_delay_alu instid0(VALU_DEP_4) | instskip(NEXT) | instid1(VALU_DEP_3)
	v_dual_add_f32 v39, v48, v39 :: v_dual_fmamk_f32 v48, v109, 0x3ee437d1, v75
	v_dual_mul_f32 v80, 0x3eb8f4ab, v146 :: v_dual_add_f32 v37, v54, v37
	v_dual_mul_f32 v67, 0xbf06c442, v145 :: v_dual_mul_f32 v110, 0xbf06c442, v146
	s_delay_alu instid0(VALU_DEP_3) | instskip(SKIP_3) | instid1(VALU_DEP_3)
	v_add_f32_e32 v36, v48, v36
	v_dual_fmamk_f32 v48, v109, 0x3dbcf732, v100 :: v_dual_add_f32 v113, v22, v20
	v_add_f32_e32 v34, v49, v34
	v_dual_add_f32 v111, v13, v31 :: v_dual_mul_f32 v76, 0xbe3c28d5, v146
	v_dual_add_f32 v39, v48, v39 :: v_dual_fmamk_f32 v54, v113, 0x3f6eb680, v80
	v_fmamk_f32 v49, v109, 0xbf59a7d5, v67
	s_delay_alu instid0(VALU_DEP_3)
	v_fma_f32 v50, 0xbf59a7d5, v111, -v70
	v_mul_f32_e32 v121, 0x3e3c28d5, v107
	v_mul_f32_e32 v118, 0x3f763a35, v112
	v_fmamk_f32 v48, v113, 0xbf7ba420, v76
	v_add_f32_e32 v34, v49, v34
	v_fma_f32 v49, 0x3ee437d1, v84, -v74
	v_add_f32_e32 v35, v50, v35
	v_fma_f32 v50, 0xbf1a4643, v87, -v122
	v_mul_f32_e32 v135, 0xbf7ee86f, v93
	s_delay_alu instid0(VALU_DEP_4) | instskip(SKIP_1) | instid1(VALU_DEP_3)
	v_dual_mul_f32 v132, 0xbe3c28d5, v40 :: v_dual_add_f32 v49, v49, v1
	v_dual_add_f32 v89, v48, v34 :: v_dual_mul_f32 v120, 0xbeb8f4ab, v117
	v_fma_f32 v48, 0x3dbcf732, v84, -v135
	v_mul_f32_e32 v79, 0xbe3c28d5, v124
	s_delay_alu instid0(VALU_DEP_4) | instskip(SKIP_4) | instid1(VALU_DEP_4)
	v_add_f32_e32 v49, v50, v49
	v_fma_f32 v50, 0xbf7ba420, v98, -v121
	v_mul_f32_e32 v116, 0x3f2c7751, v115
	v_dual_add_f32 v48, v48, v1 :: v_dual_mul_f32 v137, 0xbe3c28d5, v103
	v_mul_f32_e32 v123, 0xbf7ee86f, v119
	v_add_f32_e32 v49, v50, v49
	v_fma_f32 v50, 0xbe8c1d8e, v102, -v118
	v_mul_f32_e32 v91, 0x3f65296c, v119
	v_mul_f32_e32 v138, 0x3f763a35, v107
	v_mul_f32_e32 v141, 0x3eb8f4ab, v112
	s_delay_alu instid0(VALU_DEP_4) | instskip(NEXT) | instid1(VALU_DEP_4)
	v_dual_mul_f32 v139, 0xbf65296c, v115 :: v_dual_add_f32 v34, v50, v49
	v_fma_f32 v51, 0x3ee437d1, v111, -v91
	v_add_f32_e32 v50, v54, v36
	v_fma_f32 v49, 0x3f6eb680, v108, -v120
	v_fma_f32 v54, 0xbf7ba420, v87, -v137
	v_mul_f32_e32 v131, 0xbf7ee86f, v38
	v_add_f32_e32 v37, v51, v37
	v_fma_f32 v51, 0xbf7ba420, v114, -v79
	v_dual_mul_f32 v127, 0xbf06c442, v143 :: v_dual_mul_f32 v136, 0xbf06c442, v117
	v_add_f32_e32 v48, v54, v48
	v_fma_f32 v54, 0x3dbcf732, v111, -v123
	s_delay_alu instid0(VALU_DEP_4)
	v_add_f32_e32 v90, v51, v35
	v_fma_f32 v35, 0x3f3d2fb0, v105, -v116
	v_fma_f32 v55, 0x3f6eb680, v114, -v92
	v_mul_f32_e32 v126, 0x3f2c7751, v146
	v_mul_f32_e32 v130, 0xbf65296c, v144
	;; [unrolled: 1-line block ×3, first 2 shown]
	v_add_f32_e32 v34, v35, v34
	v_fmamk_f32 v36, v113, 0xbf59a7d5, v110
	v_fmamk_f32 v51, v85, 0xbf7ba420, v132
	;; [unrolled: 1-line block ×3, first 2 shown]
	s_delay_alu instid0(VALU_DEP_4)
	v_dual_mul_f32 v125, 0xbf06c442, v124 :: v_dual_add_f32 v34, v49, v34
	v_fmamk_f32 v35, v83, 0x3dbcf732, v131
	v_mul_f32_e32 v134, 0x3f2c7751, v124
	global_wb scope:SCOPE_SE
	s_barrier_signal -1
	v_dual_add_f32 v34, v54, v34 :: v_dual_add_f32 v35, v35, v0
	v_fma_f32 v54, 0xbf59a7d5, v114, -v125
	v_fma_f32 v149, 0x3f3d2fb0, v114, -v134
	s_barrier_wait -1
	global_inv scope:SCOPE_SE
	v_add_f32_e32 v35, v51, v35
	v_fma_f32 v51, 0xbe8c1d8e, v98, -v138
	s_delay_alu instid0(VALU_DEP_1) | instskip(SKIP_1) | instid1(VALU_DEP_1)
	v_add_f32_e32 v48, v51, v48
	v_fma_f32 v51, 0x3f6eb680, v102, -v141
	v_add_f32_e32 v48, v51, v48
	v_fma_f32 v51, 0x3ee437d1, v105, -v139
	s_delay_alu instid0(VALU_DEP_1) | instskip(SKIP_1) | instid1(VALU_DEP_1)
	v_dual_mul_f32 v133, 0x3f763a35, v41 :: v_dual_add_f32 v48, v51, v48
	v_fma_f32 v51, 0xbf59a7d5, v108, -v136
	v_dual_fmamk_f32 v49, v94, 0xbe8c1d8e, v133 :: v_dual_add_f32 v48, v51, v48
	v_mul_f32_e32 v140, 0x3f4c4adb, v119
	s_delay_alu instid0(VALU_DEP_2) | instskip(NEXT) | instid1(VALU_DEP_2)
	v_add_f32_e32 v35, v49, v35
	v_fma_f32 v51, 0xbf1a4643, v111, -v140
	s_delay_alu instid0(VALU_DEP_1) | instskip(SKIP_2) | instid1(VALU_DEP_3)
	v_add_f32_e32 v147, v51, v48
	v_add_f32_e32 v51, v55, v37
	v_dual_mul_f32 v129, 0x3eb8f4ab, v142 :: v_dual_add_f32 v48, v36, v39
	v_add_f32_e32 v55, v149, v147
	s_delay_alu instid0(VALU_DEP_2) | instskip(NEXT) | instid1(VALU_DEP_1)
	v_fmamk_f32 v49, v101, 0x3f6eb680, v129
	v_add_f32_e32 v35, v49, v35
	v_fmamk_f32 v49, v104, 0x3ee437d1, v130
	s_delay_alu instid0(VALU_DEP_1) | instskip(SKIP_1) | instid1(VALU_DEP_1)
	v_add_f32_e32 v35, v49, v35
	v_fmamk_f32 v49, v106, 0xbf59a7d5, v127
	v_add_f32_e32 v35, v49, v35
	v_fmamk_f32 v49, v109, 0xbf1a4643, v128
	s_delay_alu instid0(VALU_DEP_1) | instskip(NEXT) | instid1(VALU_DEP_1)
	v_add_f32_e32 v35, v49, v35
	v_dual_add_f32 v49, v54, v34 :: v_dual_add_f32 v54, v148, v35
	s_and_saveexec_b32 s0, vcc_lo
	s_cbranch_execz .LBB0_7
; %bb.6:
	v_mul_f32_e32 v153, 0xbf763a35, v38
	v_mul_f32_e32 v150, 0xbe8c1d8e, v84
	;; [unrolled: 1-line block ×5, first 2 shown]
	v_fmamk_f32 v35, v83, 0xbe8c1d8e, v153
	v_mul_f32_e32 v152, 0x3f3d2fb0, v98
	v_fmamk_f32 v37, v85, 0xbf59a7d5, v156
	v_fmamk_f32 v148, v83, 0xbf1a4643, v169
	v_mul_f32_e32 v161, 0x3f7ee86f, v143
	v_dual_add_f32 v35, v35, v0 :: v_dual_mul_f32 v154, 0x3ee437d1, v102
	s_delay_alu instid0(VALU_DEP_3) | instskip(NEXT) | instid1(VALU_DEP_2)
	v_dual_fmamk_f32 v149, v85, 0xbe8c1d8e, v171 :: v_dual_add_f32 v148, v148, v0
	v_dual_mul_f32 v160, 0x3dbcf732, v108 :: v_dual_add_f32 v35, v37, v35
	v_fmamk_f32 v34, v93, 0x3f763a35, v150
	v_mul_f32_e32 v151, 0xbf59a7d5, v87
	s_delay_alu instid0(VALU_DEP_4) | instskip(NEXT) | instid1(VALU_DEP_3)
	v_dual_fmamk_f32 v37, v112, 0x3f65296c, v154 :: v_dual_add_f32 v148, v149, v148
	v_dual_fmamk_f32 v39, v107, 0xbf2c7751, v152 :: v_dual_add_f32 v34, v34, v1
	s_delay_alu instid0(VALU_DEP_3) | instskip(SKIP_3) | instid1(VALU_DEP_4)
	v_fmamk_f32 v36, v103, 0xbf06c442, v151
	v_mul_f32_e32 v155, 0xbf7ba420, v105
	v_dual_mul_f32 v164, 0xbf1a4643, v84 :: v_dual_mul_f32 v165, 0xbf1a4643, v114
	v_mul_f32_e32 v192, 0x3f3d2fb0, v111
	v_dual_add_f32 v34, v36, v34 :: v_dual_mul_f32 v157, 0x3f2c7751, v41
	v_mul_f32_e32 v158, 0xbf65296c, v142
	v_mul_f32_e32 v163, 0xbeb8f4ab, v145
	;; [unrolled: 1-line block ×3, first 2 shown]
	s_delay_alu instid0(VALU_DEP_4) | instskip(SKIP_4) | instid1(VALU_DEP_4)
	v_add_f32_e32 v34, v39, v34
	v_fmamk_f32 v36, v94, 0x3f3d2fb0, v157
	v_fmamk_f32 v147, v124, 0x3f4c4adb, v165
	;; [unrolled: 1-line block ×3, first 2 shown]
	v_mul_f32_e32 v186, 0x3f65296c, v40
	v_dual_add_f32 v34, v37, v34 :: v_dual_add_f32 v35, v36, v35
	v_fmamk_f32 v36, v115, 0x3e3c28d5, v155
	v_mul_f32_e32 v203, 0x3eb8f4ab, v40
	v_mul_f32_e32 v173, 0xbeb8f4ab, v41
	v_mul_f32_e32 v198, 0x3f6eb680, v87
	v_mul_f32_e32 v176, 0xbf06c442, v142
	v_add_f32_e32 v34, v36, v34
	v_fmamk_f32 v36, v117, 0xbf7ee86f, v160
	v_mul_f32_e32 v159, 0xbe3c28d5, v144
	v_fmamk_f32 v204, v85, 0x3f6eb680, v203
	v_fmamk_f32 v188, v85, 0x3ee437d1, v186
	s_delay_alu instid0(VALU_DEP_4) | instskip(SKIP_2) | instid1(VALU_DEP_3)
	v_dual_fmamk_f32 v175, v94, 0x3f6eb680, v173 :: v_dual_add_f32 v34, v36, v34
	v_fmamk_f32 v36, v119, 0x3eb8f4ab, v162
	v_fmamk_f32 v39, v101, 0x3ee437d1, v158
	v_dual_fmamk_f32 v37, v104, 0xbf7ba420, v159 :: v_dual_add_f32 v148, v175, v148
	s_delay_alu instid0(VALU_DEP_3) | instskip(NEXT) | instid1(VALU_DEP_3)
	v_dual_fmamk_f32 v175, v101, 0xbf59a7d5, v176 :: v_dual_add_f32 v34, v36, v34
	v_add_f32_e32 v35, v39, v35
	v_fmamk_f32 v39, v109, 0x3f6eb680, v163
	v_mul_f32_e32 v178, 0x3f7ee86f, v144
	s_delay_alu instid0(VALU_DEP_4) | instskip(NEXT) | instid1(VALU_DEP_4)
	v_add_f32_e32 v148, v175, v148
	v_dual_mul_f32 v172, 0x3dbcf732, v105 :: v_dual_add_f32 v35, v37, v35
	v_fmamk_f32 v37, v106, 0x3dbcf732, v161
	s_delay_alu instid0(VALU_DEP_4) | instskip(SKIP_2) | instid1(VALU_DEP_4)
	v_fmamk_f32 v175, v104, 0x3dbcf732, v178
	v_mul_f32_e32 v174, 0x3f3d2fb0, v108
	v_dual_mul_f32 v149, 0xbf7ba420, v111 :: v_dual_mul_f32 v190, 0xbf7ba420, v108
	v_add_f32_e32 v35, v37, v35
	v_fmamk_f32 v37, v93, 0x3f4c4adb, v164
	s_delay_alu instid0(VALU_DEP_4) | instskip(SKIP_1) | instid1(VALU_DEP_3)
	v_fmamk_f32 v177, v117, 0x3f2c7751, v174
	v_dual_mul_f32 v193, 0xbeb8f4ab, v144 :: v_dual_fmamk_f32 v200, v103, 0xbeb8f4ab, v198
	v_dual_add_f32 v39, v39, v35 :: v_dual_add_f32 v36, v37, v1
	v_mul_f32_e32 v166, 0xbe8c1d8e, v87
	v_mul_f32_e32 v179, 0xbf59a7d5, v84
	;; [unrolled: 1-line block ×4, first 2 shown]
	v_fma_f32 v153, 0xbe8c1d8e, v83, -v153
	v_fmamk_f32 v37, v103, 0xbf763a35, v166
	v_fmac_f32_e32 v152, 0x3f2c7751, v107
	v_fmac_f32_e32 v151, 0x3f06c442, v103
	v_mul_f32_e32 v144, 0xbf4c4adb, v144
	v_fma_f32 v156, 0xbf59a7d5, v85, -v156
	v_dual_add_f32 v35, v37, v36 :: v_dual_mul_f32 v168, 0x3f6eb680, v98
	v_fmac_f32_e32 v166, 0x3f763a35, v103
	v_mul_f32_e32 v189, 0xbf7ee86f, v41
	v_mul_f32_e32 v183, 0x3dbcf732, v98
	;; [unrolled: 1-line block ×3, first 2 shown]
	v_dual_fmamk_f32 v36, v107, 0x3eb8f4ab, v168 :: v_dual_add_f32 v153, v153, v0
	v_mul_f32_e32 v196, 0xbe3c28d5, v143
	v_fmac_f32_e32 v155, 0xbe3c28d5, v115
	s_delay_alu instid0(VALU_DEP_3)
	v_dual_fmamk_f32 v182, v103, 0xbf65296c, v180 :: v_dual_add_f32 v35, v36, v35
	v_mul_f32_e32 v170, 0xbf59a7d5, v102
	v_fmac_f32_e32 v180, 0x3f65296c, v103
	v_fmac_f32_e32 v168, 0xbeb8f4ab, v107
	v_fmac_f32_e32 v165, 0xbf4c4adb, v124
	v_fmac_f32_e32 v160, 0x3f7ee86f, v117
	v_dual_fmamk_f32 v36, v112, 0x3f06c442, v170 :: v_dual_add_f32 v3, v3, v1
	s_delay_alu instid0(VALU_DEP_1) | instskip(SKIP_1) | instid1(VALU_DEP_3)
	v_dual_add_f32 v35, v36, v35 :: v_dual_fmamk_f32 v36, v115, 0xbf7ee86f, v172
	v_fmac_f32_e32 v172, 0x3f7ee86f, v115
	v_dual_fmac_f32 v170, 0xbf06c442, v112 :: v_dual_add_f32 v3, v25, v3
	s_delay_alu instid0(VALU_DEP_3) | instskip(SKIP_2) | instid1(VALU_DEP_3)
	v_dual_add_f32 v36, v36, v35 :: v_dual_mul_f32 v167, 0xbf4c4adb, v146
	v_add_f32_e32 v35, v147, v34
	v_fmamk_f32 v147, v119, 0x3e3c28d5, v149
	v_dual_add_f32 v3, v27, v3 :: v_dual_add_f32 v36, v177, v36
	s_delay_alu instid0(VALU_DEP_4) | instskip(SKIP_1) | instid1(VALU_DEP_3)
	v_fmamk_f32 v37, v113, 0xbf1a4643, v167
	v_mul_f32_e32 v177, 0xbf2c7751, v143
	v_dual_add_f32 v3, v17, v3 :: v_dual_add_f32 v36, v147, v36
	s_delay_alu instid0(VALU_DEP_3) | instskip(SKIP_1) | instid1(VALU_DEP_4)
	v_dual_mul_f32 v147, 0x3ee437d1, v114 :: v_dual_add_f32 v34, v37, v39
	v_add_f32_e32 v37, v175, v148
	v_fmamk_f32 v39, v106, 0x3f3d2fb0, v177
	v_mul_f32_e32 v175, 0xbe3c28d5, v145
	s_delay_alu instid0(VALU_DEP_4) | instskip(SKIP_1) | instid1(VALU_DEP_4)
	v_fmamk_f32 v181, v124, 0xbf65296c, v147
	v_add_f32_e32 v3, v19, v3
	v_add_f32_e32 v37, v39, v37
	s_delay_alu instid0(VALU_DEP_4) | instskip(NEXT) | instid1(VALU_DEP_3)
	v_fmamk_f32 v39, v109, 0xbf7ba420, v175
	v_add_f32_e32 v3, v29, v3
	s_delay_alu instid0(VALU_DEP_2) | instskip(SKIP_2) | instid1(VALU_DEP_4)
	v_add_f32_e32 v39, v39, v37
	v_add_f32_e32 v37, v181, v36
	v_mul_f32_e32 v181, 0xbf06c442, v38
	v_add_f32_e32 v3, v31, v3
	s_delay_alu instid0(VALU_DEP_2) | instskip(NEXT) | instid1(VALU_DEP_2)
	v_fmamk_f32 v185, v83, 0xbf59a7d5, v181
	v_add_f32_e32 v3, v21, v3
	s_delay_alu instid0(VALU_DEP_2) | instskip(NEXT) | instid1(VALU_DEP_2)
	v_add_f32_e32 v185, v185, v0
	v_add_f32_e32 v3, v23, v3
	s_delay_alu instid0(VALU_DEP_2) | instskip(NEXT) | instid1(VALU_DEP_2)
	v_dual_add_f32 v185, v188, v185 :: v_dual_fmamk_f32 v188, v94, 0x3dbcf732, v189
	v_add_f32_e32 v3, v13, v3
	s_delay_alu instid0(VALU_DEP_2) | instskip(NEXT) | instid1(VALU_DEP_2)
	v_dual_add_f32 v185, v188, v185 :: v_dual_fmamk_f32 v188, v101, 0xbf1a4643, v191
	v_dual_fmamk_f32 v148, v93, 0x3f06c442, v179 :: v_dual_add_f32 v3, v15, v3
	s_delay_alu instid0(VALU_DEP_2) | instskip(NEXT) | instid1(VALU_DEP_2)
	v_add_f32_e32 v185, v188, v185
	v_add_f32_e32 v148, v148, v1
	s_delay_alu instid0(VALU_DEP_3) | instskip(NEXT) | instid1(VALU_DEP_2)
	v_dual_fmamk_f32 v188, v104, 0x3f6eb680, v193 :: v_dual_add_f32 v3, v9, v3
	v_add_f32_e32 v36, v182, v148
	s_delay_alu instid0(VALU_DEP_2) | instskip(SKIP_3) | instid1(VALU_DEP_4)
	v_dual_fmamk_f32 v182, v107, 0x3f7ee86f, v183 :: v_dual_add_f32 v185, v188, v185
	v_fmamk_f32 v188, v106, 0xbf7ba420, v196
	v_mul_f32_e32 v184, 0xbf1a4643, v102
	v_mul_f32_e32 v148, 0x3f65296c, v146
	v_dual_add_f32 v36, v182, v36 :: v_dual_fmac_f32 v183, 0xbf7ee86f, v107
	s_delay_alu instid0(VALU_DEP_4) | instskip(NEXT) | instid1(VALU_DEP_4)
	v_add_f32_e32 v185, v188, v185
	v_fmamk_f32 v182, v112, 0xbf4c4adb, v184
	s_delay_alu instid0(VALU_DEP_4) | instskip(NEXT) | instid1(VALU_DEP_2)
	v_dual_fmamk_f32 v194, v113, 0x3ee437d1, v148 :: v_dual_add_f32 v3, v11, v3
	v_add_f32_e32 v36, v182, v36
	v_fmamk_f32 v182, v115, 0x3eb8f4ab, v187
	v_fmac_f32_e32 v187, 0xbeb8f4ab, v115
	s_delay_alu instid0(VALU_DEP_4) | instskip(SKIP_1) | instid1(VALU_DEP_4)
	v_add_f32_e32 v3, v5, v3
	v_mul_lo_u16 v5, v97, 17
	v_add_f32_e32 v36, v182, v36
	v_fmamk_f32 v182, v117, 0x3e3c28d5, v190
	v_fmac_f32_e32 v190, 0xbe3c28d5, v117
	v_fmac_f32_e32 v184, 0x3f4c4adb, v112
	v_mul_f32_e32 v206, 0x3ee437d1, v108
	s_delay_alu instid0(VALU_DEP_4) | instskip(SKIP_2) | instid1(VALU_DEP_4)
	v_dual_add_f32 v182, v182, v36 :: v_dual_and_b32 v11, 0xffff, v5
	v_add_f32_e32 v36, v194, v39
	v_mul_f32_e32 v194, 0x3f2c7751, v145
	v_fmamk_f32 v207, v117, 0xbf65296c, v206
	v_mul_f32_e32 v205, 0xbf06c442, v41
	v_dual_add_f32 v39, v195, v182 :: v_dual_mul_f32 v182, 0xbf7ba420, v84
	s_delay_alu instid0(VALU_DEP_4) | instskip(SKIP_2) | instid1(VALU_DEP_4)
	v_fmamk_f32 v188, v109, 0x3f3d2fb0, v194
	v_mul_f32_e32 v201, 0xbf59a7d5, v98
	v_add_f32_e32 v7, v7, v3
	v_fmamk_f32 v197, v93, 0x3e3c28d5, v182
	s_delay_alu instid0(VALU_DEP_4) | instskip(NEXT) | instid1(VALU_DEP_2)
	v_dual_add_f32 v185, v188, v185 :: v_dual_mul_f32 v188, 0xbe3c28d5, v38
	v_add_f32_e32 v197, v197, v1
	v_fma_f32 v148, 0x3ee437d1, v113, -v148
	s_delay_alu instid0(VALU_DEP_3) | instskip(NEXT) | instid1(VALU_DEP_3)
	v_fmamk_f32 v202, v83, 0xbf7ba420, v188
	v_add_f32_e32 v38, v200, v197
	v_mul_f32_e32 v200, 0xbf763a35, v146
	s_delay_alu instid0(VALU_DEP_3) | instskip(NEXT) | instid1(VALU_DEP_1)
	v_dual_mul_f32 v195, 0xbe8c1d8e, v114 :: v_dual_add_f32 v202, v202, v0
	v_add_f32_e32 v41, v204, v202
	v_mul_f32_e32 v204, 0x3f2c7751, v142
	s_delay_alu instid0(VALU_DEP_4) | instskip(NEXT) | instid1(VALU_DEP_4)
	v_fmamk_f32 v142, v113, 0xbe8c1d8e, v200
	v_fmamk_f32 v199, v124, 0x3f763a35, v195
	;; [unrolled: 1-line block ×4, first 2 shown]
	v_dual_fmac_f32 v150, 0xbf763a35, v93 :: v_dual_fmac_f32 v195, 0xbf763a35, v124
	s_delay_alu instid0(VALU_DEP_4) | instskip(SKIP_1) | instid1(VALU_DEP_4)
	v_add_f32_e32 v39, v199, v39
	v_mul_f32_e32 v199, 0x3f3d2fb0, v102
	v_dual_add_f32 v38, v197, v38 :: v_dual_mul_f32 v197, 0xbf1a4643, v105
	v_fmac_f32_e32 v179, 0xbf06c442, v93
	s_delay_alu instid0(VALU_DEP_3) | instskip(SKIP_3) | instid1(VALU_DEP_4)
	v_dual_add_f32 v41, v202, v41 :: v_dual_fmamk_f32 v40, v112, 0xbf2c7751, v199
	v_add_f32_e32 v150, v150, v1
	v_fmac_f32_e32 v192, 0x3f2c7751, v119
	v_fmac_f32_e32 v201, 0xbf06c442, v107
	v_dual_fmac_f32 v199, 0x3f2c7751, v112 :: v_dual_add_f32 v38, v40, v38
	v_fmamk_f32 v40, v115, 0x3f4c4adb, v197
	v_dual_add_f32 v150, v151, v150 :: v_dual_add_f32 v151, v156, v153
	v_fma_f32 v153, 0x3f3d2fb0, v94, -v157
	s_delay_alu instid0(VALU_DEP_3) | instskip(SKIP_2) | instid1(VALU_DEP_3)
	v_dual_fmac_f32 v197, 0xbf4c4adb, v115 :: v_dual_add_f32 v40, v40, v38
	v_dual_add_f32 v38, v142, v185 :: v_dual_mul_f32 v185, 0x3f65296c, v143
	v_add_f32_e32 v143, v179, v1
	v_dual_mul_f32 v179, 0xbf763a35, v145 :: v_dual_add_f32 v40, v207, v40
	v_fma_f32 v156, 0xbe8c1d8e, v85, -v171
	v_mul_f32_e32 v115, 0x3ee437d1, v84
	s_delay_alu instid0(VALU_DEP_4) | instskip(SKIP_1) | instid1(VALU_DEP_2)
	v_dual_add_f32 v143, v180, v143 :: v_dual_mul_f32 v180, 0x3dbcf732, v114
	v_mul_f32_e32 v157, 0x3f3d2fb0, v87
	v_add_f32_e32 v143, v183, v143
	v_fma_f32 v183, 0x3dbcf732, v94, -v189
	s_delay_alu instid0(VALU_DEP_2) | instskip(NEXT) | instid1(VALU_DEP_1)
	v_dual_add_f32 v143, v184, v143 :: v_dual_fmamk_f32 v202, v101, 0x3f3d2fb0, v204
	v_add_f32_e32 v143, v187, v143
	s_delay_alu instid0(VALU_DEP_2) | instskip(NEXT) | instid1(VALU_DEP_2)
	v_dual_add_f32 v41, v202, v41 :: v_dual_mul_f32 v202, 0xbe8c1d8e, v111
	v_add_f32_e32 v143, v190, v143
	s_delay_alu instid0(VALU_DEP_2) | instskip(NEXT) | instid1(VALU_DEP_2)
	v_fmamk_f32 v145, v119, 0x3f763a35, v202
	v_dual_add_f32 v143, v192, v143 :: v_dual_mul_f32 v146, 0x3f7ee86f, v146
	s_delay_alu instid0(VALU_DEP_2) | instskip(SKIP_2) | instid1(VALU_DEP_4)
	v_add_f32_e32 v40, v145, v40
	v_fma_f32 v145, 0xbf59a7d5, v83, -v181
	v_fmamk_f32 v181, v124, 0xbf7ee86f, v180
	v_dual_fmamk_f32 v142, v104, 0xbf1a4643, v144 :: v_dual_add_f32 v143, v195, v143
	s_delay_alu instid0(VALU_DEP_1) | instskip(SKIP_1) | instid1(VALU_DEP_1)
	v_add_f32_e32 v41, v142, v41
	v_fmamk_f32 v142, v106, 0x3ee437d1, v185
	v_dual_add_f32 v41, v142, v41 :: v_dual_fmamk_f32 v142, v109, 0xbe8c1d8e, v179
	s_delay_alu instid0(VALU_DEP_1) | instskip(SKIP_1) | instid1(VALU_DEP_1)
	v_dual_add_f32 v142, v142, v41 :: v_dual_add_f32 v41, v145, v0
	v_fma_f32 v145, 0x3ee437d1, v85, -v186
	v_add_f32_e32 v145, v145, v41
	v_add_f32_e32 v41, v181, v40
	v_fmamk_f32 v40, v113, 0x3dbcf732, v146
	v_fma_f32 v181, 0xbf1a4643, v101, -v191
	v_fma_f32 v146, 0x3dbcf732, v113, -v146
	v_dual_add_f32 v145, v183, v145 :: v_dual_fmac_f32 v202, 0xbf763a35, v119
	s_delay_alu instid0(VALU_DEP_4) | instskip(SKIP_1) | instid1(VALU_DEP_3)
	v_add_f32_e32 v40, v40, v142
	v_fmac_f32_e32 v164, 0xbf4c4adb, v93
	v_add_f32_e32 v142, v181, v145
	v_fma_f32 v145, 0x3f6eb680, v104, -v193
	s_delay_alu instid0(VALU_DEP_1) | instskip(SKIP_1) | instid1(VALU_DEP_1)
	v_add_f32_e32 v142, v145, v142
	v_fma_f32 v145, 0xbf7ba420, v106, -v196
	v_add_f32_e32 v142, v145, v142
	v_fma_f32 v145, 0x3f3d2fb0, v109, -v194
	s_delay_alu instid0(VALU_DEP_1) | instskip(SKIP_4) | instid1(VALU_DEP_3)
	v_add_f32_e32 v142, v145, v142
	v_add_f32_e32 v145, v153, v151
	v_fma_f32 v151, 0x3ee437d1, v101, -v158
	v_fma_f32 v153, 0xbf7ba420, v83, -v188
	v_fma_f32 v158, 0x3f6eb680, v94, -v173
	v_add_f32_e32 v145, v151, v145
	v_fma_f32 v151, 0xbf7ba420, v104, -v159
	v_fma_f32 v159, 0xbf59a7d5, v101, -v176
	s_delay_alu instid0(VALU_DEP_2) | instskip(SKIP_2) | instid1(VALU_DEP_2)
	v_add_f32_e32 v145, v151, v145
	v_fma_f32 v151, 0x3dbcf732, v106, -v161
	v_fma_f32 v161, 0x3dbcf732, v104, -v178
	v_dual_add_f32 v145, v151, v145 :: v_dual_add_f32 v150, v152, v150
	v_fma_f32 v151, 0x3f6eb680, v109, -v163
	v_fmac_f32_e32 v154, 0xbf65296c, v112
	v_fma_f32 v152, 0xbe8c1d8e, v113, -v200
	v_fma_f32 v163, 0xbf7ba420, v109, -v175
	s_delay_alu instid0(VALU_DEP_3) | instskip(NEXT) | instid1(VALU_DEP_3)
	v_dual_add_f32 v151, v151, v145 :: v_dual_add_f32 v150, v154, v150
	v_dual_add_f32 v142, v152, v142 :: v_dual_add_f32 v145, v153, v0
	v_fma_f32 v153, 0x3f6eb680, v85, -v203
	v_fmac_f32_e32 v162, 0xbeb8f4ab, v119
	s_delay_alu instid0(VALU_DEP_4) | instskip(SKIP_3) | instid1(VALU_DEP_4)
	v_add_f32_e32 v150, v155, v150
	v_fma_f32 v155, 0xbf59a7d5, v94, -v205
	v_fma_f32 v154, 0xbf1a4643, v113, -v167
	v_dual_add_f32 v153, v153, v145 :: v_dual_fmac_f32 v198, 0x3eb8f4ab, v103
	v_add_f32_e32 v150, v160, v150
	v_add_f32_e32 v103, v164, v1
	v_fmac_f32_e32 v182, 0xbe3c28d5, v93
	s_delay_alu instid0(VALU_DEP_4)
	v_add_f32_e32 v93, v155, v153
	v_fma_f32 v155, 0xbf1a4643, v83, -v169
	v_add_f32_e32 v150, v162, v150
	v_add_f32_e32 v103, v166, v103
	;; [unrolled: 1-line block ×3, first 2 shown]
	v_fma_f32 v162, 0x3f3d2fb0, v106, -v177
	v_add_f32_e32 v155, v155, v0
	v_add_f32_e32 v145, v165, v150
	s_delay_alu instid0(VALU_DEP_4) | instskip(SKIP_1) | instid1(VALU_DEP_4)
	v_dual_add_f32 v103, v168, v103 :: v_dual_add_f32 v152, v198, v152
	v_fmac_f32_e32 v206, 0x3f65296c, v117
	v_dual_mul_f32 v112, 0x3f6eb680, v84 :: v_dual_add_f32 v155, v156, v155
	s_delay_alu instid0(VALU_DEP_3) | instskip(SKIP_1) | instid1(VALU_DEP_3)
	v_dual_add_f32 v103, v170, v103 :: v_dual_add_f32 v152, v201, v152
	v_fmac_f32_e32 v174, 0xbf2c7751, v117
	v_dual_mul_f32 v156, 0x3dbcf732, v85 :: v_dual_add_f32 v155, v158, v155
	v_mul_f32_e32 v158, 0xbe8c1d8e, v98
	s_delay_alu instid0(VALU_DEP_4) | instskip(SKIP_2) | instid1(VALU_DEP_4)
	v_add_f32_e32 v150, v199, v152
	v_fma_f32 v152, 0x3f3d2fb0, v101, -v204
	v_mul_f32_e32 v117, 0xbf7ba420, v87
	v_dual_add_f32 v155, v159, v155 :: v_dual_add_f32 v138, v138, v158
	s_delay_alu instid0(VALU_DEP_3)
	v_dual_mul_f32 v158, 0x3ee437d1, v98 :: v_dual_add_f32 v93, v152, v93
	v_fma_f32 v152, 0xbf1a4643, v104, -v144
	v_add_f32_e32 v144, v154, v151
	v_fma_f32 v151, 0x3ee437d1, v106, -v185
	v_fma_f32 v154, 0xbe8c1d8e, v109, -v179
	v_add_f32_e32 v117, v137, v117
	v_dual_add_f32 v93, v152, v93 :: v_dual_add_f32 v150, v197, v150
	v_dual_mul_f32 v160, 0x3f6eb680, v102 :: v_dual_add_f32 v155, v161, v155
	s_delay_alu instid0(VALU_DEP_2) | instskip(SKIP_1) | instid1(VALU_DEP_3)
	v_dual_mul_f32 v152, 0x3f3d2fb0, v83 :: v_dual_add_f32 v93, v151, v93
	v_mul_f32_e32 v151, 0x3f3d2fb0, v84
	v_add_f32_e32 v141, v141, v160
	v_mul_f32_e32 v84, 0x3dbcf732, v84
	v_mul_f32_e32 v153, 0x3ee437d1, v83
	v_dual_add_f32 v107, v206, v150 :: v_dual_mul_f32 v150, 0x3f6eb680, v83
	s_delay_alu instid0(VALU_DEP_3) | instskip(SKIP_3) | instid1(VALU_DEP_4)
	v_dual_mul_f32 v83, 0x3dbcf732, v83 :: v_dual_add_f32 v84, v135, v84
	v_add_f32_e32 v93, v154, v93
	v_dual_mul_f32 v154, 0x3f3d2fb0, v85 :: v_dual_add_f32 v155, v162, v155
	v_mul_f32_e32 v162, 0xbf59a7d5, v108
	v_add_f32_e32 v84, v84, v1
	v_mul_f32_e32 v137, 0xbf1a4643, v85
	v_dual_mul_f32 v85, 0xbf7ba420, v85 :: v_dual_mul_f32 v160, 0xbf7ba420, v94
	s_delay_alu instid0(VALU_DEP_3) | instskip(SKIP_2) | instid1(VALU_DEP_3)
	v_dual_mul_f32 v135, 0x3dbcf732, v87 :: v_dual_add_f32 v84, v117, v84
	v_mul_f32_e32 v87, 0xbf1a4643, v87
	v_dual_fmac_f32 v149, 0xbe3c28d5, v119 :: v_dual_add_f32 v136, v136, v162
	v_dual_mul_f32 v119, 0x3ee437d1, v105 :: v_dual_add_f32 v84, v138, v84
	v_sub_f32_e32 v85, v85, v132
	v_add_f32_e32 v103, v172, v103
	v_mul_f32_e32 v117, 0x3ee437d1, v94
	s_delay_alu instid0(VALU_DEP_4) | instskip(NEXT) | instid1(VALU_DEP_3)
	v_dual_mul_f32 v138, 0xbf1a4643, v98 :: v_dual_add_f32 v119, v139, v119
	v_dual_add_f32 v84, v141, v84 :: v_dual_add_f32 v103, v174, v103
	v_dual_fmac_f32 v180, 0x3f7ee86f, v124 :: v_dual_sub_f32 v83, v83, v131
	s_delay_alu instid0(VALU_DEP_2) | instskip(SKIP_1) | instid1(VALU_DEP_4)
	v_dual_mul_f32 v159, 0xbf1a4643, v94 :: v_dual_add_f32 v84, v119, v84
	v_dual_mul_f32 v98, 0xbf7ba420, v98 :: v_dual_mul_f32 v139, 0xbf7ba420, v101
	v_dual_mul_f32 v94, 0xbe8c1d8e, v94 :: v_dual_add_f32 v103, v149, v103
	v_mul_f32_e32 v119, 0xbe8c1d8e, v101
	v_fmac_f32_e32 v147, 0x3f65296c, v124
	v_dual_mul_f32 v124, 0xbf1a4643, v111 :: v_dual_add_f32 v83, v83, v0
	v_mul_f32_e32 v161, 0x3dbcf732, v101
	v_dual_mul_f32 v101, 0x3f6eb680, v101 :: v_dual_add_f32 v74, v74, v115
	v_add_f32_e32 v84, v136, v84
	s_delay_alu instid0(VALU_DEP_4) | instskip(SKIP_4) | instid1(VALU_DEP_4)
	v_dual_mul_f32 v136, 0xbf59a7d5, v104 :: v_dual_add_f32 v83, v85, v83
	v_add_f32_e32 v124, v140, v124
	v_dual_mul_f32 v140, 0xbf59a7d5, v105 :: v_dual_add_f32 v87, v122, v87
	v_dual_mul_f32 v85, 0xbe8c1d8e, v106 :: v_dual_add_f32 v74, v74, v1
	v_dual_sub_f32 v94, v94, v133 :: v_dual_mul_f32 v141, 0x3dbcf732, v102
	v_add_f32_e32 v84, v124, v84
	v_dual_mul_f32 v162, 0xbe8c1d8e, v104 :: v_dual_add_f32 v155, v163, v155
	s_delay_alu instid0(VALU_DEP_4)
	v_dual_mul_f32 v163, 0xbe8c1d8e, v105 :: v_dual_add_f32 v74, v87, v74
	v_dual_mul_f32 v131, 0x3f3d2fb0, v104 :: v_dual_mul_f32 v132, 0x3f3d2fb0, v114
	v_mul_f32_e32 v149, 0xbf7ba420, v102
	v_mul_f32_e32 v102, 0xbe8c1d8e, v102
	v_dual_mul_f32 v105, 0x3f3d2fb0, v105 :: v_dual_add_f32 v98, v121, v98
	v_dual_mul_f32 v104, 0x3ee437d1, v104 :: v_dual_add_f32 v83, v94, v83
	v_dual_mul_f32 v124, 0xbf1a4643, v106 :: v_dual_sub_f32 v101, v101, v129
	v_dual_mul_f32 v94, 0xbf59a7d5, v111 :: v_dual_sub_f32 v153, v153, v65
	v_add_f32_e32 v132, v134, v132
	s_delay_alu instid0(VALU_DEP_4)
	v_dual_mul_f32 v133, 0xbe8c1d8e, v108 :: v_dual_sub_f32 v104, v104, v130
	v_mul_f32_e32 v115, 0x3f6eb680, v106
	v_dual_mul_f32 v106, 0xbf59a7d5, v106 :: v_dual_add_f32 v101, v101, v83
	v_dual_mul_f32 v129, 0x3ee437d1, v109 :: v_dual_add_f32 v98, v98, v74
	;; [unrolled: 1-line block ×4, first 2 shown]
	v_mul_f32_e32 v130, 0xbf7ba420, v114
	v_dual_mul_f32 v165, 0x3f6eb680, v113 :: v_dual_mul_f32 v118, 0x3f6eb680, v114
	v_dual_mul_f32 v166, 0xbf59a7d5, v113 :: v_dual_add_f32 v103, v153, v0
	v_dual_mul_f32 v114, 0xbf59a7d5, v114 :: v_dual_sub_f32 v73, v137, v73
	v_mul_f32_e32 v111, 0x3dbcf732, v111
	v_dual_mul_f32 v164, 0xbf7ba420, v113 :: v_dual_add_f32 v83, v132, v84
	v_dual_add_f32 v84, v104, v101 :: v_dual_sub_f32 v101, v106, v127
	s_delay_alu instid0(VALU_DEP_4)
	v_dual_add_f32 v73, v73, v103 :: v_dual_sub_f32 v78, v160, v78
	v_dual_add_f32 v58, v58, v151 :: v_dual_sub_f32 v53, v152, v53
	v_dual_add_f32 v107, v202, v107 :: v_dual_mul_f32 v134, 0xbf1a4643, v108
	v_mul_f32_e32 v108, 0x3f6eb680, v108
	v_mul_f32_e32 v122, 0xbf59a7d5, v109
	;; [unrolled: 1-line block ×3, first 2 shown]
	s_delay_alu instid0(VALU_DEP_4)
	v_add_f32_e32 v65, v180, v107
	v_dual_mul_f32 v113, 0x3f3d2fb0, v113 :: v_dual_add_f32 v98, v102, v98
	v_add_f32_e32 v102, v116, v105
	v_dual_add_f32 v84, v101, v84 :: v_dual_add_f32 v73, v78, v73
	v_dual_sub_f32 v78, v119, v81 :: v_dual_add_f32 v53, v53, v0
	v_dual_add_f32 v58, v58, v1 :: v_dual_sub_f32 v59, v156, v59
	s_delay_alu instid0(VALU_DEP_4) | instskip(NEXT) | instid1(VALU_DEP_3)
	v_dual_sub_f32 v101, v109, v128 :: v_dual_add_f32 v98, v102, v98
	v_dual_add_f32 v102, v120, v108 :: v_dual_add_f32 v73, v78, v73
	s_delay_alu instid0(VALU_DEP_3) | instskip(SKIP_2) | instid1(VALU_DEP_3)
	v_dual_add_f32 v62, v62, v135 :: v_dual_add_f32 v53, v59, v53
	v_sub_f32_e32 v78, v131, v86
	v_dual_sub_f32 v86, v113, v126 :: v_dual_sub_f32 v63, v159, v63
	v_add_f32_e32 v58, v62, v58
	v_add_f32_e32 v62, v68, v138
	s_delay_alu instid0(VALU_DEP_4)
	v_dual_add_f32 v68, v78, v73 :: v_dual_sub_f32 v73, v115, v99
	v_dual_add_f32 v84, v101, v84 :: v_dual_add_f32 v81, v102, v98
	v_add_f32_e32 v98, v123, v111
	v_dual_add_f32 v78, v125, v114 :: v_dual_add_f32 v53, v63, v53
	v_dual_sub_f32 v63, v139, v69 :: v_dual_add_f32 v2, v2, v0
	v_sub_f32_e32 v17, v129, v75
	v_add_f32_e32 v19, v47, v158
	v_add_f32_e32 v13, v64, v134
	s_delay_alu instid0(VALU_DEP_4) | instskip(SKIP_3) | instid1(VALU_DEP_3)
	v_add_f32_e32 v53, v63, v53
	v_dual_sub_f32 v63, v136, v66 :: v_dual_add_f32 v68, v73, v68
	v_add_f32_e32 v73, v82, v133
	v_dual_add_f32 v81, v98, v81 :: v_dual_add_f32 v2, v24, v2
	v_add_f32_e32 v25, v63, v53
	v_dual_sub_f32 v53, v85, v71 :: v_dual_add_f32 v24, v92, v118
	s_delay_alu instid0(VALU_DEP_3) | instskip(SKIP_4) | instid1(VALU_DEP_3)
	v_add_f32_e32 v59, v78, v81
	v_add_f32_e32 v58, v62, v58
	;; [unrolled: 1-line block ×3, first 2 shown]
	v_sub_f32_e32 v72, v121, v100
	v_dual_add_f32 v25, v53, v25 :: v_dual_add_f32 v26, v26, v2
	v_dual_sub_f32 v9, v124, v61 :: v_dual_add_f32 v58, v62, v58
	v_add_f32_e32 v62, v77, v140
	s_delay_alu instid0(VALU_DEP_4) | instskip(NEXT) | instid1(VALU_DEP_4)
	v_add_f32_e32 v68, v72, v68
	v_dual_sub_f32 v72, v166, v110 :: v_dual_add_f32 v17, v17, v25
	v_add_f32_e32 v82, v86, v84
	s_delay_alu instid0(VALU_DEP_4) | instskip(SKIP_1) | instid1(VALU_DEP_4)
	v_add_f32_e32 v62, v62, v58
	v_add_f32_e32 v64, v146, v93
	;; [unrolled: 1-line block ×4, first 2 shown]
	s_delay_alu instid0(VALU_DEP_4) | instskip(NEXT) | instid1(VALU_DEP_1)
	v_dual_add_f32 v62, v73, v62 :: v_dual_add_f32 v73, v148, v155
	v_add_f32_e32 v62, v68, v62
	s_delay_alu instid0(VALU_DEP_1) | instskip(SKIP_1) | instid1(VALU_DEP_1)
	v_add_f32_e32 v2, v24, v62
	v_add_f32_e32 v24, v43, v112
	;; [unrolled: 1-line block ×4, first 2 shown]
	s_delay_alu instid0(VALU_DEP_1) | instskip(NEXT) | instid1(VALU_DEP_1)
	v_add_f32_e32 v1, v24, v1
	v_add_f32_e32 v1, v19, v1
	;; [unrolled: 1-line block ×3, first 2 shown]
	s_delay_alu instid0(VALU_DEP_1) | instskip(NEXT) | instid1(VALU_DEP_1)
	v_dual_add_f32 v16, v16, v26 :: v_dual_add_f32 v1, v19, v1
	v_dual_add_f32 v19, v60, v163 :: v_dual_add_f32 v16, v18, v16
	s_delay_alu instid0(VALU_DEP_1) | instskip(NEXT) | instid1(VALU_DEP_2)
	v_dual_sub_f32 v18, v150, v42 :: v_dual_add_f32 v1, v19, v1
	v_add_f32_e32 v16, v28, v16
	s_delay_alu instid0(VALU_DEP_2) | instskip(NEXT) | instid1(VALU_DEP_3)
	v_add_f32_e32 v0, v18, v0
	v_dual_sub_f32 v18, v154, v44 :: v_dual_add_f32 v1, v13, v1
	s_delay_alu instid0(VALU_DEP_3) | instskip(SKIP_1) | instid1(VALU_DEP_3)
	v_add_f32_e32 v16, v30, v16
	v_add_f32_e32 v13, v70, v94
	;; [unrolled: 1-line block ×3, first 2 shown]
	v_sub_f32_e32 v18, v117, v46
	s_delay_alu instid0(VALU_DEP_3) | instskip(NEXT) | instid1(VALU_DEP_2)
	v_dual_add_f32 v16, v20, v16 :: v_dual_add_f32 v1, v13, v1
	v_add_f32_e32 v0, v18, v0
	v_sub_f32_e32 v18, v161, v52
	s_delay_alu instid0(VALU_DEP_3) | instskip(NEXT) | instid1(VALU_DEP_2)
	v_add_f32_e32 v16, v22, v16
	v_add_f32_e32 v0, v18, v0
	s_delay_alu instid0(VALU_DEP_2) | instskip(NEXT) | instid1(VALU_DEP_1)
	v_add_f32_e32 v12, v12, v16
	v_add_f32_e32 v12, v14, v12
	s_delay_alu instid0(VALU_DEP_1) | instskip(NEXT) | instid1(VALU_DEP_1)
	v_add_f32_e32 v8, v8, v12
	v_add_f32_e32 v8, v10, v8
	s_delay_alu instid0(VALU_DEP_1) | instskip(SKIP_3) | instid1(VALU_DEP_2)
	v_add_f32_e32 v4, v4, v8
	v_sub_f32_e32 v8, v164, v76
	v_sub_f32_e32 v16, v162, v57
	v_add_f32_e32 v10, v79, v130
	v_add_f32_e32 v0, v16, v0
	s_delay_alu instid0(VALU_DEP_1) | instskip(NEXT) | instid1(VALU_DEP_1)
	v_dual_add_f32 v0, v9, v0 :: v_dual_sub_f32 v9, v122, v67
	v_add_f32_e32 v0, v9, v0
	v_add_f32_e32 v9, v6, v4
	v_sub_f32_e32 v12, v165, v80
	v_add_f32_e32 v4, v10, v1
	s_delay_alu instid0(VALU_DEP_4) | instskip(NEXT) | instid1(VALU_DEP_4)
	v_dual_add_f32 v6, v33, v7 :: v_dual_add_f32 v3, v8, v0
	v_dual_add_f32 v5, v32, v9 :: v_dual_lshlrev_b32 v0, 3, v11
	s_delay_alu instid0(VALU_DEP_4)
	v_add_f32_e32 v1, v12, v17
	ds_store_2addr_b64 v0, v[5:6], v[3:4] offset1:1
	ds_store_2addr_b64 v0, v[1:2], v[58:59] offset0:2 offset1:3
	ds_store_2addr_b64 v0, v[82:83], v[144:145] offset0:4 offset1:5
	;; [unrolled: 1-line block ×7, first 2 shown]
	ds_store_b64 v0, v[89:90] offset:128
.LBB0_7:
	s_wait_alu 0xfffe
	s_or_b32 exec_lo, exec_lo, s0
	v_and_b32_e32 v0, 0xff, v97
	s_load_b128 s[4:7], s[4:5], 0x0
	global_wb scope:SCOPE_SE
	s_wait_dscnt 0x0
	s_wait_kmcnt 0x0
	s_barrier_signal -1
	s_barrier_wait -1
	v_mul_lo_u16 v0, 0xf1, v0
	global_inv scope:SCOPE_SE
	v_cmp_gt_u16_e64 s0, 0x55, v97
	v_lshrrev_b16 v29, 12, v0
	s_delay_alu instid0(VALU_DEP_1) | instskip(SKIP_1) | instid1(VALU_DEP_2)
	v_mul_lo_u16 v0, v29, 17
	v_and_b32_e32 v29, 0xffff, v29
	v_sub_nc_u16 v0, v97, v0
	s_delay_alu instid0(VALU_DEP_2) | instskip(NEXT) | instid1(VALU_DEP_2)
	v_mul_u32_u24_e32 v29, 0xdd, v29
	v_and_b32_e32 v28, 0xff, v0
	s_delay_alu instid0(VALU_DEP_1) | instskip(NEXT) | instid1(VALU_DEP_1)
	v_mul_u32_u24_e32 v0, 12, v28
	v_lshlrev_b32_e32 v4, 3, v0
	s_clause 0x5
	global_load_b128 v[20:23], v4, s[2:3]
	global_load_b128 v[16:19], v4, s[2:3] offset:16
	global_load_b128 v[8:11], v4, s[2:3] offset:32
	;; [unrolled: 1-line block ×5, first 2 shown]
	ds_load_2addr_b64 v[24:27], v96 offset1:136
	s_wait_loadcnt_dscnt 0x500
	v_dual_mul_f32 v42, v27, v21 :: v_dual_add_nc_u32 v31, 0x1000, v96
	ds_load_2addr_b64 v[56:59], v31 offset0:32 offset1:168
	v_add_nc_u32_e32 v30, 0x800, v96
	v_dual_mul_f32 v52, v26, v21 :: v_dual_add_nc_u32 v31, 0x2000, v96
	v_fma_f32 v82, v26, v20, -v42
	s_wait_loadcnt_dscnt 0x400
	v_mul_f32_e32 v43, v56, v19
	ds_load_2addr_b64 v[37:40], v30 offset0:16 offset1:152
	s_wait_loadcnt 0x3
	v_dual_mul_f32 v41, v58, v9 :: v_dual_add_nc_u32 v30, 0x1800, v96
	v_mul_f32_e32 v73, v57, v19
	v_fmac_f32_e32 v43, v57, v18
	ds_load_2addr_b64 v[60:63], v30 offset0:48 offset1:184
	v_add_nc_u32_e32 v30, 0x2800, v96
	s_wait_dscnt 0x1
	v_dual_fmac_f32 v41, v59, v8 :: v_dual_mul_f32 v44, v38, v23
	v_mul_f32_e32 v45, v40, v17
	v_mul_f32_e32 v53, v37, v23
	s_delay_alu instid0(VALU_DEP_3)
	v_fma_f32 v83, v37, v22, -v44
	s_wait_dscnt 0x0
	v_mul_f32_e32 v75, v61, v11
	ds_load_2addr_b64 v[64:67], v31 offset0:64 offset1:200
	ds_load_2addr_b64 v[68:71], v30 offset0:80 offset1:216
	ds_load_b64 v[46:47], v96 offset:13056
	v_mul_f32_e32 v74, v59, v9
	v_mul_f32_e32 v72, v39, v17
	s_wait_loadcnt 0x2
	v_dual_mul_f32 v30, v60, v11 :: v_dual_mul_f32 v31, v62, v1
	v_fma_f32 v84, v39, v16, -v45
	v_dual_mul_f32 v76, v63, v1 :: v_dual_fmac_f32 v53, v38, v22
	v_fma_f32 v45, v56, v18, -v73
	s_delay_alu instid0(VALU_DEP_4)
	v_dual_fmac_f32 v30, v61, v10 :: v_dual_fmac_f32 v31, v63, v0
	v_fma_f32 v42, v60, v10, -v75
	global_wb scope:SCOPE_SE
	s_wait_loadcnt_dscnt 0x0
	s_barrier_signal -1
	s_barrier_wait -1
	global_inv scope:SCOPE_SE
	v_dual_mul_f32 v78, v67, v13 :: v_dual_mul_f32 v79, v69, v15
	v_mul_f32_e32 v35, v46, v7
	v_dual_mul_f32 v32, v66, v13 :: v_dual_mul_f32 v81, v47, v7
	v_mul_f32_e32 v77, v65, v3
	s_delay_alu instid0(VALU_DEP_4) | instskip(SKIP_3) | instid1(VALU_DEP_4)
	v_fma_f32 v37, v68, v14, -v79
	v_mul_f32_e32 v36, v64, v3
	v_dual_mul_f32 v33, v68, v15 :: v_dual_mul_f32 v80, v71, v5
	v_mul_f32_e32 v34, v70, v5
	v_dual_fmac_f32 v52, v27, v20 :: v_dual_add_f32 v63, v84, v37
	v_dual_fmac_f32 v72, v40, v16 :: v_dual_fmac_f32 v35, v47, v6
	v_fma_f32 v38, v66, v12, -v78
	v_fma_f32 v26, v46, v6, -v81
	s_delay_alu instid0(VALU_DEP_4)
	v_dual_add_f32 v46, v24, v82 :: v_dual_add_f32 v47, v25, v52
	v_fma_f32 v44, v58, v8, -v74
	v_fma_f32 v39, v64, v2, -v77
	v_dual_fmac_f32 v36, v65, v2 :: v_dual_add_f32 v57, v52, v35
	v_dual_fmac_f32 v32, v67, v12 :: v_dual_sub_f32 v65, v84, v37
	v_fmac_f32_e32 v33, v69, v14
	v_fma_f32 v27, v70, v4, -v80
	v_dual_fmac_f32 v34, v71, v4 :: v_dual_add_f32 v67, v45, v38
	v_sub_f32_e32 v58, v82, v26
	v_dual_sub_f32 v52, v52, v35 :: v_dual_sub_f32 v69, v45, v38
	v_add_f32_e32 v46, v46, v83
	v_fma_f32 v40, v62, v0, -v76
	v_dual_add_f32 v56, v82, v26 :: v_dual_add_f32 v59, v83, v27
	v_dual_add_f32 v60, v53, v34 :: v_dual_add_f32 v71, v44, v39
	v_dual_sub_f32 v61, v83, v27 :: v_dual_sub_f32 v62, v53, v34
	s_delay_alu instid0(VALU_DEP_4)
	v_dual_sub_f32 v77, v42, v40 :: v_dual_sub_f32 v66, v72, v33
	v_sub_f32_e32 v75, v41, v36
	v_dual_sub_f32 v70, v43, v32 :: v_dual_mul_f32 v81, 0xbf52af12, v58
	v_dual_sub_f32 v74, v44, v39 :: v_dual_add_f32 v47, v47, v53
	v_dual_sub_f32 v78, v30, v31 :: v_dual_mul_f32 v53, 0xbeedf032, v52
	v_dual_mul_f32 v80, 0xbf52af12, v52 :: v_dual_mul_f32 v93, 0xbf52af12, v61
	v_mul_f32_e32 v85, 0xbf6f5d39, v52
	v_dual_mul_f32 v91, 0xbf29c268, v58 :: v_dual_add_f32 v46, v46, v84
	v_dual_add_f32 v64, v72, v33 :: v_dual_add_f32 v73, v41, v36
	v_dual_add_f32 v68, v43, v32 :: v_dual_mul_f32 v79, 0xbeedf032, v58
	v_dual_add_f32 v76, v42, v40 :: v_dual_mul_f32 v83, 0xbf7e222b, v58
	v_dual_mul_f32 v82, 0xbf7e222b, v52 :: v_dual_mul_f32 v105, 0xbf7e222b, v66
	v_mul_f32_e32 v86, 0xbf6f5d39, v58
	v_mul_f32_e32 v87, 0xbf29c268, v52
	v_dual_mul_f32 v52, 0xbe750f2a, v52 :: v_dual_mul_f32 v99, 0xbe750f2a, v62
	v_dual_mul_f32 v58, 0xbe750f2a, v58 :: v_dual_add_f32 v47, v47, v72
	v_dual_mul_f32 v92, 0xbf52af12, v62 :: v_dual_mul_f32 v129, 0xbf52af12, v75
	v_dual_mul_f32 v94, 0xbf6f5d39, v62 :: v_dual_add_f32 v45, v46, v45
	v_dual_mul_f32 v98, 0xbf6f5d39, v61 :: v_dual_mul_f32 v115, 0xbf6f5d39, v70
	v_dual_mul_f32 v100, 0xbe750f2a, v61 :: v_dual_mul_f32 v107, 0xbe750f2a, v66
	;; [unrolled: 1-line block ×7, first 2 shown]
	v_fma_f32 v72, 0x3f62ad3f, v56, -v53
	v_fma_f32 v136, 0x3f116cb1, v56, -v80
	v_dual_fmamk_f32 v137, v57, 0x3f116cb1, v81 :: v_dual_fmac_f32 v80, 0x3f116cb1, v56
	v_dual_mul_f32 v109, 0x3f6f5d39, v66 :: v_dual_mul_f32 v110, 0x3f6f5d39, v65
	v_dual_mul_f32 v113, 0xbf52af12, v66 :: v_dual_mul_f32 v114, 0xbf52af12, v65
	v_mul_f32_e32 v66, 0xbf29c268, v66
	v_dual_mul_f32 v116, 0xbf6f5d39, v69 :: v_dual_add_f32 v43, v47, v43
	v_dual_mul_f32 v117, 0x3f29c268, v70 :: v_dual_mul_f32 v118, 0x3f29c268, v69
	v_dual_mul_f32 v119, 0x3eedf032, v70 :: v_dual_mul_f32 v120, 0x3eedf032, v69
	;; [unrolled: 1-line block ×3, first 2 shown]
	v_mul_f32_e32 v70, 0x3f52af12, v70
	v_dual_mul_f32 v125, 0xbf29c268, v75 :: v_dual_add_f32 v46, v24, v72
	v_dual_mul_f32 v127, 0x3f7e222b, v75 :: v_dual_mul_f32 v128, 0x3f7e222b, v74
	v_dual_mul_f32 v131, 0x3e750f2a, v75 :: v_dual_mul_f32 v132, 0x3e750f2a, v74
	;; [unrolled: 1-line block ×3, first 2 shown]
	v_mul_f32_e32 v75, 0xbf6f5d39, v75
	v_dual_fmamk_f32 v84, v57, 0x3f62ad3f, v79 :: v_dual_fmamk_f32 v161, v64, 0x3f62ad3f, v112
	v_mul_f32_e32 v122, 0xbf7e222b, v69
	v_mul_f32_e32 v69, 0x3f52af12, v69
	v_fmac_f32_e32 v53, 0x3f62ad3f, v56
	v_fma_f32 v79, 0x3f62ad3f, v57, -v79
	v_fma_f32 v81, 0x3f116cb1, v57, -v81
	;; [unrolled: 1-line block ×3, first 2 shown]
	v_dual_fmamk_f32 v139, v57, 0x3df6dbef, v83 :: v_dual_fmac_f32 v82, 0x3df6dbef, v56
	v_fma_f32 v83, 0x3df6dbef, v57, -v83
	v_fma_f32 v140, 0xbeb58ec6, v56, -v85
	v_fmamk_f32 v141, v57, 0xbeb58ec6, v86
	v_fmac_f32_e32 v85, 0xbeb58ec6, v56
	v_fma_f32 v86, 0xbeb58ec6, v57, -v86
	v_fma_f32 v142, 0xbf3f9e67, v56, -v87
	v_fmamk_f32 v143, v57, 0xbf3f9e67, v91
	v_dual_fmac_f32 v87, 0xbf3f9e67, v56 :: v_dual_add_f32 v72, v25, v79
	v_fma_f32 v91, 0xbf3f9e67, v57, -v91
	v_fma_f32 v144, 0xbf788fa5, v56, -v52
	v_dual_fmamk_f32 v145, v57, 0xbf788fa5, v58 :: v_dual_add_f32 v80, v24, v80
	v_fmac_f32_e32 v52, 0xbf788fa5, v56
	v_fma_f32 v56, 0xbf788fa5, v57, -v58
	v_fma_f32 v57, 0x3f116cb1, v59, -v92
	v_dual_fmac_f32 v92, 0x3f116cb1, v59 :: v_dual_fmamk_f32 v175, v68, 0x3f116cb1, v69
	v_fma_f32 v146, 0xbeb58ec6, v59, -v94
	v_fmac_f32_e32 v94, 0xbeb58ec6, v59
	v_fma_f32 v148, 0xbf788fa5, v59, -v99
	v_fmac_f32_e32 v99, 0xbf788fa5, v59
	;; [unrolled: 2-line block ×3, first 2 shown]
	v_fma_f32 v152, 0x3df6dbef, v59, -v103
	v_dual_fmac_f32 v103, 0x3df6dbef, v59 :: v_dual_add_f32 v82, v24, v82
	v_fma_f32 v154, 0x3f62ad3f, v59, -v62
	v_dual_fmamk_f32 v155, v60, 0x3f62ad3f, v61 :: v_dual_fmac_f32 v62, 0x3f62ad3f, v59
	v_fma_f32 v59, 0x3f62ad3f, v60, -v61
	v_dual_fmamk_f32 v61, v64, 0x3df6dbef, v106 :: v_dual_add_f32 v44, v45, v44
	v_dual_mul_f32 v108, 0xbe750f2a, v65 :: v_dual_mul_f32 v135, 0xbe750f2a, v78
	v_dual_mul_f32 v65, 0xbf29c268, v65 :: v_dual_mul_f32 v126, 0xbf29c268, v74
	v_dual_mul_f32 v130, 0xbf52af12, v74 :: v_dual_add_f32 v53, v24, v53
	v_dual_mul_f32 v74, 0xbf6f5d39, v74 :: v_dual_add_f32 v79, v25, v137
	s_delay_alu instid0(VALU_DEP_2)
	v_dual_fmamk_f32 v58, v60, 0x3f116cb1, v93 :: v_dual_fmamk_f32 v179, v73, 0x3f116cb1, v130
	v_fma_f32 v93, 0x3f116cb1, v60, -v93
	v_fmamk_f32 v147, v60, 0xbeb58ec6, v98
	v_fma_f32 v98, 0xbeb58ec6, v60, -v98
	v_fmamk_f32 v149, v60, 0xbf788fa5, v100
	v_fma_f32 v100, 0xbf788fa5, v60, -v100
	v_dual_fmamk_f32 v151, v60, 0xbf3f9e67, v102 :: v_dual_add_f32 v86, v25, v86
	v_fma_f32 v102, 0xbf3f9e67, v60, -v102
	v_fma_f32 v164, 0xbf3f9e67, v63, -v66
	v_fmac_f32_e32 v66, 0xbf3f9e67, v63
	v_fmamk_f32 v153, v60, 0x3df6dbef, v104
	v_fma_f32 v104, 0x3df6dbef, v60, -v104
	v_fma_f32 v60, 0x3df6dbef, v63, -v105
	;; [unrolled: 1-line block ×3, first 2 shown]
	v_dual_fmac_f32 v117, 0xbf3f9e67, v67 :: v_dual_add_f32 v42, v44, v42
	v_fma_f32 v174, 0x3f116cb1, v67, -v70
	v_dual_fmac_f32 v70, 0x3f116cb1, v67 :: v_dual_add_f32 v81, v25, v81
	v_add_f32_e32 v47, v25, v84
	v_add_f32_e32 v41, v43, v41
	;; [unrolled: 1-line block ×3, first 2 shown]
	v_fmac_f32_e32 v105, 0x3df6dbef, v63
	v_fma_f32 v106, 0x3df6dbef, v64, -v106
	v_fma_f32 v156, 0xbf788fa5, v63, -v107
	v_fmamk_f32 v157, v64, 0xbf788fa5, v108
	v_dual_fmac_f32 v107, 0xbf788fa5, v63 :: v_dual_add_f32 v46, v92, v53
	v_fma_f32 v108, 0xbf788fa5, v64, -v108
	v_fma_f32 v158, 0xbeb58ec6, v63, -v109
	v_fmamk_f32 v159, v64, 0xbeb58ec6, v110
	v_fma_f32 v110, 0xbeb58ec6, v64, -v110
	v_fma_f32 v160, 0x3f62ad3f, v63, -v111
	v_fmac_f32_e32 v111, 0x3f62ad3f, v63
	v_fma_f32 v112, 0x3f62ad3f, v64, -v112
	v_fma_f32 v162, 0x3f116cb1, v63, -v113
	v_fmamk_f32 v163, v64, 0x3f116cb1, v114
	v_fma_f32 v114, 0x3f116cb1, v64, -v114
	v_fmamk_f32 v167, v68, 0xbf3f9e67, v118
	v_fma_f32 v118, 0xbf3f9e67, v68, -v118
	v_fma_f32 v168, 0x3f62ad3f, v67, -v119
	v_fmac_f32_e32 v119, 0x3f62ad3f, v67
	v_fma_f32 v170, 0x3df6dbef, v67, -v121
	v_fma_f32 v172, 0xbf788fa5, v67, -v123
	v_fmamk_f32 v173, v68, 0xbf788fa5, v124
	v_fmac_f32_e32 v123, 0xbf788fa5, v67
	v_fma_f32 v124, 0xbf788fa5, v68, -v124
	v_fma_f32 v176, 0x3df6dbef, v71, -v127
	v_fmac_f32_e32 v127, 0x3df6dbef, v71
	v_fma_f32 v178, 0x3f116cb1, v71, -v129
	v_fma_f32 v180, 0xbf788fa5, v71, -v131
	v_fmac_f32_e32 v131, 0xbf788fa5, v71
	v_fma_f32 v182, 0x3f62ad3f, v71, -v133
	v_dual_fmac_f32 v133, 0x3f62ad3f, v71 :: v_dual_add_f32 v40, v42, v40
	v_fma_f32 v184, 0xbeb58ec6, v71, -v75
	v_dual_add_f32 v84, v24, v138 :: v_dual_fmac_f32 v109, 0xbeb58ec6, v63
	v_add_f32_e32 v137, v24, v140
	v_fmac_f32_e32 v113, 0x3f116cb1, v63
	v_fma_f32 v63, 0xbf3f9e67, v64, -v65
	v_add_f32_e32 v85, v24, v85
	v_fmamk_f32 v165, v64, 0xbf3f9e67, v65
	v_fma_f32 v64, 0xbeb58ec6, v67, -v115
	v_fmac_f32_e32 v115, 0xbeb58ec6, v67
	v_fmac_f32_e32 v129, 0x3f116cb1, v71
	;; [unrolled: 1-line block ×3, first 2 shown]
	v_add_f32_e32 v87, v24, v87
	v_fmamk_f32 v65, v68, 0xbeb58ec6, v116
	v_fma_f32 v116, 0xbeb58ec6, v68, -v116
	v_add_f32_e32 v45, v58, v47
	v_fmamk_f32 v169, v68, 0x3f62ad3f, v120
	v_fma_f32 v120, 0x3f62ad3f, v68, -v120
	;; [unrolled: 3-line block ×3, first 2 shown]
	v_add_f32_e32 v57, v98, v81
	v_fmac_f32_e32 v121, 0x3df6dbef, v67
	v_fma_f32 v67, 0x3f116cb1, v68, -v69
	v_fma_f32 v68, 0xbf3f9e67, v71, -v125
	v_fmac_f32_e32 v125, 0xbf3f9e67, v71
	v_fma_f32 v71, 0xbeb58ec6, v73, -v74
	v_add_f32_e32 v43, v60, v43
	v_dual_fmamk_f32 v185, v73, 0xbeb58ec6, v74 :: v_dual_add_f32 v74, v24, v136
	v_add_f32_e32 v136, v25, v139
	v_add_f32_e32 v138, v25, v141
	s_delay_alu instid0(VALU_DEP_4) | instskip(SKIP_2) | instid1(VALU_DEP_4)
	v_add_f32_e32 v42, v64, v43
	v_add_f32_e32 v139, v24, v142
	;; [unrolled: 1-line block ×3, first 2 shown]
	v_dual_add_f32 v24, v24, v52 :: v_dual_add_f32 v81, v151, v138
	v_add_f32_e32 v83, v25, v83
	v_add_f32_e32 v140, v25, v143
	;; [unrolled: 1-line block ×3, first 2 shown]
	s_delay_alu instid0(VALU_DEP_4)
	v_add_f32_e32 v24, v62, v24
	v_dual_add_f32 v52, v146, v74 :: v_dual_add_f32 v53, v147, v79
	v_add_f32_e32 v62, v161, v81
	v_add_f32_e32 v91, v25, v91
	;; [unrolled: 1-line block ×6, first 2 shown]
	v_dual_add_f32 v45, v105, v46 :: v_dual_add_f32 v58, v148, v84
	s_delay_alu instid0(VALU_DEP_3)
	v_dual_add_f32 v79, v100, v83 :: v_dual_add_f32 v70, v70, v24
	v_add_f32_e32 v24, v40, v39
	v_dual_add_f32 v46, v106, v47 :: v_dual_add_f32 v47, v156, v52
	v_dual_add_f32 v52, v157, v53 :: v_dual_add_f32 v53, v107, v56
	v_dual_add_f32 v83, v102, v86 :: v_dual_add_f32 v86, v103, v87
	v_dual_add_f32 v92, v155, v142 :: v_dual_add_f32 v43, v65, v44
	s_delay_alu instid0(VALU_DEP_4) | instskip(NEXT) | instid1(VALU_DEP_4)
	v_dual_add_f32 v44, v115, v45 :: v_dual_add_f32 v45, v116, v46
	v_dual_add_f32 v46, v166, v47 :: v_dual_add_f32 v47, v167, v52
	v_add_f32_e32 v52, v117, v53
	v_dual_fmamk_f32 v69, v73, 0xbf3f9e67, v126 :: v_dual_add_f32 v84, v152, v139
	v_dual_fmamk_f32 v177, v73, 0x3df6dbef, v128 :: v_dual_add_f32 v60, v110, v79
	v_add_f32_e32 v72, v149, v136
	s_delay_alu instid0(VALU_DEP_3) | instskip(SKIP_1) | instid1(VALU_DEP_3)
	v_dual_add_f32 v74, v99, v82 :: v_dual_add_f32 v79, v162, v84
	v_dual_add_f32 v56, v108, v57 :: v_dual_add_f32 v57, v158, v58
	v_add_f32_e32 v58, v159, v72
	v_add_f32_e32 v80, v150, v137
	s_delay_alu instid0(VALU_DEP_4) | instskip(SKIP_3) | instid1(VALU_DEP_3)
	v_dual_add_f32 v64, v172, v79 :: v_dual_add_f32 v25, v59, v25
	v_add_f32_e32 v59, v109, v74
	v_dual_add_f32 v53, v118, v56 :: v_dual_add_f32 v56, v168, v57
	v_add_f32_e32 v57, v169, v58
	;; [unrolled: 2-line block ×3, first 2 shown]
	v_add_f32_e32 v81, v113, v86
	v_add_f32_e32 v84, v165, v92
	s_delay_alu instid0(VALU_DEP_4) | instskip(NEXT) | instid1(VALU_DEP_4)
	v_dual_add_f32 v59, v120, v60 :: v_dual_add_f32 v60, v170, v61
	v_add_f32_e32 v72, v111, v82
	v_add_f32_e32 v61, v171, v62
	v_dual_add_f32 v66, v123, v81 :: v_dual_add_f32 v87, v104, v91
	v_dual_add_f32 v91, v154, v141 :: v_dual_add_f32 v24, v24, v38
	s_delay_alu instid0(VALU_DEP_4) | instskip(SKIP_2) | instid1(VALU_DEP_4)
	v_add_f32_e32 v62, v121, v72
	v_add_f32_e32 v41, v41, v30
	v_dual_add_f32 v25, v63, v25 :: v_dual_add_f32 v40, v125, v44
	v_dual_add_f32 v24, v24, v37 :: v_dual_add_f32 v85, v153, v140
	s_delay_alu instid0(VALU_DEP_3) | instskip(NEXT) | instid1(VALU_DEP_3)
	v_add_f32_e32 v41, v41, v31
	v_add_f32_e32 v67, v67, v25
	v_dual_add_f32 v70, v75, v70 :: v_dual_add_f32 v37, v182, v64
	v_add_f32_e32 v39, v69, v43
	s_delay_alu instid0(VALU_DEP_4)
	v_dual_add_f32 v25, v41, v36 :: v_dual_add_f32 v36, v68, v42
	v_add_f32_e32 v42, v176, v46
	v_add_f32_e32 v46, v178, v56
	v_add_f32_e32 v56, v129, v58
	v_dual_add_f32 v58, v180, v60 :: v_dual_fmamk_f32 v181, v73, 0xbf788fa5, v132
	v_add_f32_e32 v74, v112, v83
	v_add_f32_e32 v83, v164, v91
	v_dual_add_f32 v24, v24, v27 :: v_dual_mul_f32 v27, 0xbe750f2a, v77
	v_fma_f32 v126, 0xbf3f9e67, v73, -v126
	s_delay_alu instid0(VALU_DEP_4) | instskip(NEXT) | instid1(VALU_DEP_4)
	v_add_f32_e32 v63, v122, v74
	v_add_f32_e32 v74, v174, v83
	v_fma_f32 v128, 0x3df6dbef, v73, -v128
	v_fma_f32 v130, 0x3f116cb1, v73, -v130
	;; [unrolled: 1-line block ×3, first 2 shown]
	v_dual_fmamk_f32 v183, v73, 0x3f62ad3f, v134 :: v_dual_add_f32 v82, v114, v87
	v_add_f32_e32 v69, v184, v74
	v_dual_add_f32 v25, v25, v32 :: v_dual_add_f32 v74, v30, v31
	v_mul_f32_e32 v32, 0x3eedf032, v78
	v_fma_f32 v134, 0x3f62ad3f, v73, -v134
	v_fma_f32 v73, 0xbf788fa5, v76, -v135
	s_delay_alu instid0(VALU_DEP_4) | instskip(SKIP_2) | instid1(VALU_DEP_3)
	v_dual_add_f32 v25, v25, v33 :: v_dual_fmamk_f32 v30, v74, 0xbf788fa5, v27
	v_fma_f32 v31, 0xbf788fa5, v74, -v27
	v_add_f32_e32 v80, v163, v85
	v_dual_add_f32 v44, v127, v52 :: v_dual_add_f32 v25, v25, v34
	v_fma_f32 v34, 0x3f62ad3f, v76, -v32
	v_dual_add_f32 v27, v30, v39 :: v_dual_add_f32 v24, v24, v26
	v_add_f32_e32 v26, v73, v36
	s_delay_alu instid0(VALU_DEP_3) | instskip(SKIP_4) | instid1(VALU_DEP_4)
	v_dual_fmac_f32 v135, 0xbf788fa5, v76 :: v_dual_add_f32 v30, v34, v42
	v_mul_f32_e32 v34, 0xbf29c268, v78
	v_mul_f32_e32 v33, 0x3eedf032, v77
	v_dual_fmac_f32 v32, 0x3f62ad3f, v76 :: v_dual_add_f32 v41, v126, v45
	v_add_f32_e32 v43, v177, v47
	v_fma_f32 v36, 0xbf3f9e67, v76, -v34
	v_add_f32_e32 v47, v179, v57
	v_dual_add_f32 v25, v25, v35 :: v_dual_add_f32 v52, v135, v40
	v_mul_f32_e32 v35, 0xbf29c268, v77
	v_dual_mul_f32 v40, 0x3f52af12, v77 :: v_dual_add_f32 v57, v130, v59
	v_dual_add_f32 v59, v131, v62 :: v_dual_add_nc_u32 v100, 0x1b00, v96
	v_add_f32_e32 v62, v32, v44
	v_add_f32_e32 v32, v36, v46
	;; [unrolled: 1-line block ×4, first 2 shown]
	v_fmamk_f32 v31, v74, 0x3f62ad3f, v33
	v_fma_f32 v33, 0x3f62ad3f, v74, -v33
	v_mul_f32_e32 v39, 0x3f52af12, v78
	v_mul_f32_e32 v42, 0xbf6f5d39, v77
	v_add_f32_e32 v68, v132, v63
	s_delay_alu instid0(VALU_DEP_4)
	v_dual_fmac_f32 v34, 0xbf3f9e67, v76 :: v_dual_add_f32 v63, v33, v45
	v_fmamk_f32 v33, v74, 0xbf3f9e67, v35
	v_fma_f32 v35, 0xbf3f9e67, v74, -v35
	v_fma_f32 v36, 0x3f116cb1, v76, -v39
	v_mul_f32_e32 v41, 0xbf6f5d39, v78
	v_add_f32_e32 v65, v173, v80
	v_add_f32_e32 v38, v181, v61
	;; [unrolled: 1-line block ×3, first 2 shown]
	v_dual_fmamk_f32 v35, v74, 0x3f116cb1, v40 :: v_dual_add_f32 v72, v124, v82
	v_add_f32_e32 v60, v34, v56
	v_dual_add_f32 v34, v36, v58 :: v_dual_fmac_f32 v39, 0x3f116cb1, v76
	v_fma_f32 v36, 0x3f116cb1, v74, -v40
	v_fma_f32 v40, 0xbeb58ec6, v76, -v41
	v_add_f32_e32 v79, v175, v84
	v_add_f32_e32 v64, v183, v65
	v_dual_add_f32 v35, v35, v38 :: v_dual_fmamk_f32 v38, v74, 0xbeb58ec6, v42
	v_dual_add_f32 v65, v133, v66 :: v_dual_add_f32 v66, v134, v72
	v_dual_add_f32 v58, v39, v59 :: v_dual_add_f32 v59, v36, v68
	v_add_f32_e32 v36, v40, v37
	v_fma_f32 v39, 0xbeb58ec6, v74, -v42
	v_mul_f32_e32 v40, 0x3f7e222b, v78
	v_fmac_f32_e32 v41, 0xbeb58ec6, v76
	v_dual_add_f32 v37, v38, v64 :: v_dual_mul_f32 v38, 0x3f7e222b, v77
	s_delay_alu instid0(VALU_DEP_4) | instskip(NEXT) | instid1(VALU_DEP_4)
	v_add_f32_e32 v57, v39, v66
	v_fma_f32 v39, 0x3df6dbef, v76, -v40
	v_fmac_f32_e32 v40, 0x3df6dbef, v76
	v_add_f32_e32 v72, v185, v79
	v_dual_add_f32 v67, v71, v67 :: v_dual_add_f32 v56, v41, v65
	v_fmamk_f32 v41, v74, 0x3df6dbef, v38
	v_fma_f32 v42, 0x3df6dbef, v74, -v38
	v_add_lshl_u32 v98, v29, v28, 3
	v_dual_add_f32 v31, v31, v43 :: v_dual_add_f32 v40, v40, v70
	v_add_f32_e32 v33, v33, v47
	v_dual_add_f32 v38, v39, v69 :: v_dual_add_nc_u32 v101, 0xd00, v96
	v_add_f32_e32 v39, v41, v72
	v_add_f32_e32 v41, v42, v67
	v_add_nc_u32_e32 v99, 0x2900, v96
	ds_store_2addr_b64 v98, v[24:25], v[26:27] offset1:17
	ds_store_2addr_b64 v98, v[30:31], v[32:33] offset0:34 offset1:51
	ds_store_2addr_b64 v98, v[34:35], v[36:37] offset0:68 offset1:85
	;; [unrolled: 1-line block ×5, first 2 shown]
	ds_store_b64 v98, v[52:53] offset:1632
	global_wb scope:SCOPE_SE
	s_wait_dscnt 0x0
	s_barrier_signal -1
	s_barrier_wait -1
	global_inv scope:SCOPE_SE
	ds_load_2addr_b64 v[64:67], v96 offset1:221
	ds_load_2addr_b64 v[76:79], v101 offset0:26 offset1:247
	ds_load_2addr_b64 v[72:75], v100 offset0:20 offset1:241
	;; [unrolled: 1-line block ×3, first 2 shown]
	s_and_saveexec_b32 s1, s0
	s_cbranch_execz .LBB0_9
; %bb.8:
	v_add_nc_u32_e32 v24, 0x400, v96
	v_add_nc_u32_e32 v25, 0x1200, v96
	;; [unrolled: 1-line block ×4, first 2 shown]
	ds_load_2addr_b64 v[56:59], v24 offset0:8 offset1:229
	ds_load_2addr_b64 v[60:63], v25 offset0:2 offset1:223
	;; [unrolled: 1-line block ×4, first 2 shown]
.LBB0_9:
	s_wait_alu 0xfffe
	s_or_b32 exec_lo, exec_lo, s1
	v_mad_co_u64_u32 v[24:25], null, v97, 56, s[2:3]
	s_clause 0x3
	global_load_b128 v[44:47], v[24:25], off offset:1632
	global_load_b128 v[40:43], v[24:25], off offset:1648
	;; [unrolled: 1-line block ×3, first 2 shown]
	global_load_b64 v[93:94], v[24:25], off offset:1680
	v_add_nc_u32_e32 v24, 0x88, v97
	s_wait_loadcnt_dscnt 0x302
	v_dual_mul_f32 v82, v77, v47 :: v_dual_add_nc_u32 v25, 0xffffffab, v97
	v_mul_f32_e32 v83, v76, v47
	s_delay_alu instid0(VALU_DEP_2) | instskip(SKIP_3) | instid1(VALU_DEP_3)
	v_cndmask_b32_e64 v24, v25, v24, s0
	s_wait_loadcnt_dscnt 0x100
	v_dual_mul_f32 v84, v79, v41 :: v_dual_mul_f32 v105, v68, v39
	v_dual_mul_f32 v85, v78, v41 :: v_dual_mul_f32 v104, v69, v39
	v_mul_i32_i24_e32 v25, 56, v24
	v_mul_hi_i32_i24_e32 v24, 56, v24
	s_wait_loadcnt 0x0
	v_dual_mul_f32 v102, v75, v37 :: v_dual_mul_f32 v107, v70, v94
	v_dual_mul_f32 v103, v74, v37 :: v_dual_mul_f32 v106, v71, v94
	v_add_co_u32 v80, s1, s2, v25
	s_wait_alu 0xf1ff
	v_add_co_ci_u32_e64 v81, s1, s3, v24, s1
	s_clause 0x3
	global_load_b128 v[28:31], v[80:81], off offset:1632
	global_load_b128 v[24:27], v[80:81], off offset:1648
	;; [unrolled: 1-line block ×3, first 2 shown]
	global_load_b64 v[91:92], v[80:81], off offset:1680
	v_dual_mul_f32 v80, v67, v45 :: v_dual_mul_f32 v87, v72, v43
	v_dual_mul_f32 v81, v66, v45 :: v_dual_mul_f32 v86, v73, v43
	v_fmac_f32_e32 v103, v75, v36
	s_delay_alu instid0(VALU_DEP_3) | instskip(SKIP_1) | instid1(VALU_DEP_4)
	v_fma_f32 v66, v66, v44, -v80
	v_fma_f32 v68, v68, v38, -v104
	v_fmac_f32_e32 v81, v67, v44
	v_fma_f32 v67, v76, v46, -v82
	v_fma_f32 v76, v78, v40, -v84
	;; [unrolled: 1-line block ×3, first 2 shown]
	v_fmac_f32_e32 v83, v77, v46
	s_delay_alu instid0(VALU_DEP_4) | instskip(SKIP_4) | instid1(VALU_DEP_4)
	v_dual_fmac_f32 v87, v73, v42 :: v_dual_sub_f32 v68, v67, v68
	v_fma_f32 v73, v74, v36, -v102
	v_fmac_f32_e32 v105, v69, v38
	v_fma_f32 v69, v70, v93, -v106
	v_dual_fmac_f32 v107, v71, v93 :: v_dual_sub_f32 v70, v64, v72
	v_sub_f32_e32 v73, v66, v73
	v_fma_f32 v67, v67, 2.0, -v68
	s_delay_alu instid0(VALU_DEP_4) | instskip(NEXT) | instid1(VALU_DEP_4)
	v_sub_f32_e32 v69, v76, v69
	v_fma_f32 v64, v64, 2.0, -v70
	s_wait_loadcnt 0x3
	v_mul_f32_e32 v78, v58, v29
	v_dual_mul_f32 v80, v60, v31 :: v_dual_fmac_f32 v85, v79, v40
	v_sub_f32_e32 v74, v81, v103
	s_wait_loadcnt 0x1
	v_dual_mul_f32 v79, v61, v31 :: v_dual_mul_f32 v102, v55, v33
	v_dual_mul_f32 v82, v63, v25 :: v_dual_sub_f32 v71, v65, v87
	v_sub_f32_e32 v72, v83, v105
	v_mul_f32_e32 v84, v62, v25
	v_mul_f32_e32 v86, v53, v27
	v_sub_f32_e32 v75, v85, v107
	v_mul_f32_e32 v104, v49, v35
	v_dual_mul_f32 v105, v48, v35 :: v_dual_fmac_f32 v80, v61, v30
	v_mul_f32_e32 v77, v59, v29
	v_dual_mul_f32 v87, v52, v27 :: v_dual_add_f32 v68, v71, v68
	v_dual_mul_f32 v103, v54, v33 :: v_dual_fmac_f32 v78, v59, v28
	s_wait_loadcnt 0x0
	v_mul_f32_e32 v106, v51, v92
	v_mul_f32_e32 v107, v50, v92
	v_fma_f32 v83, v83, 2.0, -v72
	v_fma_f32 v66, v66, 2.0, -v73
	;; [unrolled: 1-line block ×4, first 2 shown]
	v_dual_sub_f32 v72, v70, v72 :: v_dual_sub_f32 v75, v73, v75
	v_dual_fmac_f32 v84, v63, v24 :: v_dual_add_f32 v69, v74, v69
	v_fma_f32 v59, v60, v30, -v79
	v_fma_f32 v48, v48, v34, -v104
	v_fmac_f32_e32 v105, v49, v34
	v_fma_f32 v65, v65, 2.0, -v71
	v_fma_f32 v81, v81, 2.0, -v74
	v_fma_f32 v58, v58, v28, -v77
	v_sub_f32_e32 v48, v59, v48
	v_fma_f32 v77, v62, v24, -v82
	v_fma_f32 v52, v52, v26, -v86
	v_fmac_f32_e32 v87, v53, v26
	v_fma_f32 v53, v54, v32, -v102
	v_dual_fmac_f32 v103, v55, v32 :: v_dual_sub_f32 v60, v81, v85
	v_fma_f32 v49, v50, v91, -v106
	v_sub_f32_e32 v50, v64, v67
	v_fmac_f32_e32 v107, v51, v91
	v_fma_f32 v55, v71, 2.0, -v68
	v_fmamk_f32 v62, v75, 0x3f3504f3, v72
	v_fma_f32 v71, v74, 2.0, -v69
	v_dual_sub_f32 v74, v80, v105 :: v_dual_sub_f32 v61, v66, v76
	v_sub_f32_e32 v76, v84, v107
	v_fma_f32 v54, v70, 2.0, -v72
	v_fma_f32 v70, v73, 2.0, -v75
	v_sub_f32_e32 v51, v65, v83
	v_dual_fmamk_f32 v63, v69, 0x3f3504f3, v68 :: v_dual_sub_f32 v82, v78, v103
	v_dual_sub_f32 v52, v56, v52 :: v_dual_sub_f32 v73, v57, v87
	v_sub_f32_e32 v53, v58, v53
	v_fma_f32 v83, v64, 2.0, -v50
	v_fma_f32 v64, v66, 2.0, -v61
	v_dual_sub_f32 v49, v77, v49 :: v_dual_fmamk_f32 v66, v70, 0xbf3504f3, v54
	v_fma_f32 v85, v65, 2.0, -v51
	v_fma_f32 v65, v81, 2.0, -v60
	s_delay_alu instid0(VALU_DEP_4)
	v_sub_f32_e32 v64, v83, v64
	v_dual_fmamk_f32 v67, v71, 0xbf3504f3, v55 :: v_dual_fmac_f32 v62, 0xbf3504f3, v69
	v_dual_sub_f32 v60, v50, v60 :: v_dual_add_f32 v61, v51, v61
	v_fma_f32 v69, v56, 2.0, -v52
	v_fma_f32 v56, v59, 2.0, -v48
	v_add_f32_e32 v48, v73, v48
	v_fma_f32 v81, v78, 2.0, -v82
	v_fma_f32 v59, v84, 2.0, -v76
	v_dual_sub_f32 v84, v52, v74 :: v_dual_fmac_f32 v63, 0x3f3504f3, v75
	v_sub_f32_e32 v86, v53, v76
	v_fma_f32 v75, v57, 2.0, -v73
	v_fma_f32 v57, v80, 2.0, -v74
	v_fma_f32 v80, v58, 2.0, -v53
	v_fma_f32 v58, v77, 2.0, -v49
	v_dual_add_f32 v49, v82, v49 :: v_dual_fmac_f32 v66, 0xbf3504f3, v71
	v_sub_f32_e32 v65, v85, v65
	v_fmac_f32_e32 v67, 0x3f3504f3, v70
	v_fma_f32 v76, v50, 2.0, -v60
	v_sub_f32_e32 v50, v69, v56
	v_fma_f32 v77, v51, 2.0, -v61
	v_fma_f32 v78, v72, 2.0, -v62
	;; [unrolled: 1-line block ×3, first 2 shown]
	v_dual_sub_f32 v51, v75, v57 :: v_dual_sub_f32 v68, v81, v59
	v_fma_f32 v52, v52, 2.0, -v84
	v_fma_f32 v87, v73, 2.0, -v48
	v_sub_f32_e32 v72, v80, v58
	v_fma_f32 v53, v53, 2.0, -v86
	v_fma_f32 v82, v82, 2.0, -v49
	v_fmamk_f32 v70, v86, 0x3f3504f3, v84
	v_fmamk_f32 v71, v49, 0x3f3504f3, v48
	v_fma_f32 v58, v54, 2.0, -v66
	v_fma_f32 v59, v55, 2.0, -v67
	;; [unrolled: 1-line block ×6, first 2 shown]
	v_sub_f32_e32 v68, v50, v68
	v_dual_fmamk_f32 v74, v53, 0xbf3504f3, v52 :: v_dual_fmamk_f32 v75, v82, 0xbf3504f3, v87
	v_dual_add_f32 v69, v51, v72 :: v_dual_fmac_f32 v70, 0xbf3504f3, v49
	v_dual_fmac_f32 v71, 0x3f3504f3, v86 :: v_dual_sub_f32 v72, v54, v73
	s_delay_alu instid0(VALU_DEP_3) | instskip(NEXT) | instid1(VALU_DEP_4)
	v_dual_sub_f32 v73, v55, v80 :: v_dual_fmac_f32 v74, 0xbf3504f3, v82
	v_fmac_f32_e32 v75, 0x3f3504f3, v53
	v_fma_f32 v56, v83, 2.0, -v64
	v_fma_f32 v57, v85, 2.0, -v65
	;; [unrolled: 1-line block ×10, first 2 shown]
	ds_store_2addr_b64 v96, v[56:57], v[58:59] offset1:221
	ds_store_2addr_b64 v101, v[76:77], v[78:79] offset0:26 offset1:247
	ds_store_2addr_b64 v100, v[64:65], v[66:67] offset0:20 offset1:241
	;; [unrolled: 1-line block ×3, first 2 shown]
	s_and_saveexec_b32 s1, s0
	s_cbranch_execz .LBB0_11
; %bb.10:
	v_add_nc_u32_e32 v48, 0x400, v96
	v_add_nc_u32_e32 v49, 0x1200, v96
	v_add_nc_u32_e32 v50, 0x1f00, v96
	v_add_nc_u32_e32 v51, 0x2d00, v96
	ds_store_2addr_b64 v48, v[84:85], v[86:87] offset0:8 offset1:229
	ds_store_2addr_b64 v49, v[80:81], v[82:83] offset0:2 offset1:223
	;; [unrolled: 1-line block ×4, first 2 shown]
.LBB0_11:
	s_wait_alu 0xfffe
	s_or_b32 exec_lo, exec_lo, s1
	global_wb scope:SCOPE_SE
	s_wait_dscnt 0x0
	s_barrier_signal -1
	s_barrier_wait -1
	global_inv scope:SCOPE_SE
	s_and_saveexec_b32 s1, vcc_lo
	s_cbranch_execz .LBB0_13
; %bb.12:
	global_load_b64 v[48:49], v96, s[12:13] offset:14144
	s_add_nc_u64 s[2:3], s[12:13], 0x3740
	s_clause 0xf
	global_load_b64 v[123:124], v96, s[2:3] offset:832
	global_load_b64 v[125:126], v96, s[2:3] offset:1664
	;; [unrolled: 1-line block ×16, first 2 shown]
	ds_load_b64 v[50:51], v96
	v_add_nc_u32_e32 v160, 0x2000, v96
	v_add_nc_u32_e32 v162, 0x3000, v96
	v_add_nc_u32_e32 v156, 0x800, v96
	s_wait_loadcnt_dscnt 0x1000
	v_dual_mul_f32 v52, v51, v49 :: v_dual_add_nc_u32 v157, 0x1000, v96
	v_mul_f32_e32 v53, v50, v49
	s_delay_alu instid0(VALU_DEP_2) | instskip(NEXT) | instid1(VALU_DEP_2)
	v_fma_f32 v52, v50, v48, -v52
	v_fmac_f32_e32 v53, v51, v48
	ds_store_b64 v96, v[52:53]
	ds_load_2addr_b64 v[48:51], v96 offset0:104 offset1:208
	ds_load_2addr_b64 v[99:102], v157 offset0:8 offset1:112
	;; [unrolled: 1-line block ×3, first 2 shown]
	v_add_nc_u32_e32 v159, 0x1c00, v96
	v_add_nc_u32_e32 v161, 0x2800, v96
	s_wait_loadcnt_dscnt 0xa01
	v_dual_mul_f32 v155, v48, v124 :: v_dual_mul_f32 v168, v102, v134
	v_add_nc_u32_e32 v158, 0x1400, v96
	v_mul_f32_e32 v164, v51, v126
	s_wait_dscnt 0x0
	s_delay_alu instid0(VALU_DEP_3)
	v_dual_mul_f32 v166, v55, v130 :: v_dual_fmac_f32 v155, v49, v123
	v_mul_f32_e32 v163, v49, v124
	ds_load_2addr_b64 v[103:106], v158 offset0:88 offset1:192
	ds_load_2addr_b64 v[107:110], v159 offset0:40 offset1:144
	;; [unrolled: 1-line block ×5, first 2 shown]
	v_dual_mul_f32 v124, v50, v126 :: v_dual_mul_f32 v165, v53, v128
	v_mul_f32_e32 v126, v52, v128
	v_dual_mul_f32 v128, v54, v130 :: v_dual_mul_f32 v167, v100, v132
	v_mul_f32_e32 v130, v99, v132
	v_mul_f32_e32 v132, v101, v134
	v_fmac_f32_e32 v124, v51, v125
	v_fmac_f32_e32 v126, v53, v127
	;; [unrolled: 1-line block ×4, first 2 shown]
	s_wait_loadcnt_dscnt 0x703
	v_dual_fmac_f32 v132, v102, v133 :: v_dual_mul_f32 v171, v108, v140
	s_wait_loadcnt 0x6
	v_dual_mul_f32 v172, v110, v142 :: v_dual_mul_f32 v169, v104, v136
	v_mul_f32_e32 v134, v103, v136
	v_mul_f32_e32 v136, v105, v138
	;; [unrolled: 1-line block ×4, first 2 shown]
	s_wait_loadcnt_dscnt 0x502
	v_dual_mul_f32 v140, v109, v142 :: v_dual_mul_f32 v173, v112, v144
	v_mul_f32_e32 v142, v111, v144
	s_wait_loadcnt_dscnt 0x301
	v_dual_mul_f32 v174, v114, v146 :: v_dual_mul_f32 v175, v116, v148
	s_wait_loadcnt_dscnt 0x100
	v_dual_mul_f32 v144, v113, v146 :: v_dual_mul_f32 v177, v120, v152
	v_mul_f32_e32 v146, v115, v148
	v_mul_f32_e32 v176, v118, v150
	;; [unrolled: 1-line block ×4, first 2 shown]
	s_wait_loadcnt 0x0
	v_mul_f32_e32 v178, v122, v154
	v_mul_f32_e32 v152, v121, v154
	v_fma_f32 v154, v48, v123, -v163
	v_fma_f32 v123, v50, v125, -v164
	;; [unrolled: 1-line block ×7, first 2 shown]
	v_fmac_f32_e32 v134, v104, v135
	v_fma_f32 v135, v105, v137, -v170
	v_fmac_f32_e32 v136, v106, v137
	v_fma_f32 v137, v107, v139, -v171
	;; [unrolled: 2-line block ×9, first 2 shown]
	v_fmac_f32_e32 v152, v122, v153
	ds_store_2addr_b64 v96, v[154:155], v[123:124] offset0:104 offset1:208
	ds_store_2addr_b64 v156, v[125:126], v[127:128] offset0:56 offset1:160
	;; [unrolled: 1-line block ×8, first 2 shown]
.LBB0_13:
	s_wait_alu 0xfffe
	s_or_b32 exec_lo, exec_lo, s1
	global_wb scope:SCOPE_SE
	s_wait_dscnt 0x0
	s_barrier_signal -1
	s_barrier_wait -1
	global_inv scope:SCOPE_SE
	s_and_saveexec_b32 s1, vcc_lo
	s_cbranch_execz .LBB0_15
; %bb.14:
	v_add_nc_u32_e32 v48, 0x400, v96
	v_add_nc_u32_e32 v49, 0xc00, v96
	;; [unrolled: 1-line block ×3, first 2 shown]
	ds_load_2addr_b64 v[56:59], v96 offset1:104
	v_add_nc_u32_e32 v51, 0x2400, v96
	ds_load_2addr_b64 v[76:79], v48 offset0:80 offset1:184
	ds_load_2addr_b64 v[64:67], v49 offset0:32 offset1:136
	v_add_nc_u32_e32 v48, 0x1800, v96
	v_add_nc_u32_e32 v49, 0x2000, v96
	;; [unrolled: 1-line block ×3, first 2 shown]
	ds_load_2addr_b64 v[60:63], v50 offset0:112 offset1:216
	ds_load_2addr_b64 v[84:87], v48 offset0:64 offset1:168
	;; [unrolled: 1-line block ×5, first 2 shown]
	ds_load_b64 v[89:90], v96 offset:13312
.LBB0_15:
	s_wait_alu 0xfffe
	s_or_b32 exec_lo, exec_lo, s1
	s_wait_dscnt 0x0
	v_dual_sub_f32 v153, v59, v90 :: v_dual_add_f32 v156, v90, v59
	v_dual_add_f32 v152, v89, v58 :: v_dual_sub_f32 v157, v58, v89
	v_sub_f32_e32 v111, v77, v71
	s_delay_alu instid0(VALU_DEP_3)
	v_mul_f32_e32 v163, 0xbf65296c, v153
	v_mul_f32_e32 v167, 0xbf7ee86f, v153
	v_add_f32_e32 v99, v71, v77
	v_mul_f32_e32 v169, 0x3dbcf732, v156
	v_mul_f32_e32 v138, 0xbf4c4adb, v111
	v_fma_f32 v50, 0x3ee437d1, v152, -v163
	v_mul_f32_e32 v161, 0x3f3d2fb0, v156
	v_fma_f32 v52, 0x3dbcf732, v152, -v167
	v_mul_f32_e32 v133, 0x3dbcf732, v99
	v_dual_sub_f32 v115, v79, v69 :: v_dual_sub_f32 v118, v65, v75
	v_add_f32_e32 v50, v56, v50
	v_dual_mul_f32 v160, 0xbf2c7751, v153 :: v_dual_fmamk_f32 v49, v157, 0xbf2c7751, v161
	v_add_f32_e32 v54, v56, v52
	s_delay_alu instid0(VALU_DEP_4) | instskip(NEXT) | instid1(VALU_DEP_3)
	v_dual_add_f32 v52, v70, v76 :: v_dual_mul_f32 v143, 0x3e3c28d5, v115
	v_fma_f32 v48, 0x3f3d2fb0, v152, -v160
	s_delay_alu instid0(VALU_DEP_4) | instskip(SKIP_1) | instid1(VALU_DEP_4)
	v_add_f32_e32 v49, v57, v49
	v_mul_f32_e32 v127, 0x3f763a35, v115
	v_fma_f32 v102, 0xbf1a4643, v52, -v138
	v_mul_f32_e32 v165, 0x3ee437d1, v156
	v_dual_add_f32 v48, v56, v48 :: v_dual_mul_f32 v151, 0x3f763a35, v118
	v_mul_f32_e32 v129, 0x3eb8f4ab, v118
	s_delay_alu instid0(VALU_DEP_4)
	v_add_f32_e32 v50, v102, v50
	v_dual_add_f32 v102, v69, v79 :: v_dual_sub_f32 v123, v63, v81
	global_wb scope:SCOPE_SE
	s_barrier_signal -1
	s_barrier_wait -1
	v_mul_f32_e32 v146, 0xbf7ba420, v102
	v_dual_sub_f32 v53, v76, v70 :: v_dual_mul_f32 v124, 0xbe3c28d5, v111
	v_mul_f32_e32 v173, 0xbf7ee86f, v123
	global_inv scope:SCOPE_SE
	v_mul_f32_e32 v126, 0xbf7ba420, v99
	v_fmamk_f32 v101, v53, 0xbf7ee86f, v133
	v_mul_f32_e32 v134, 0xbf4c4adb, v115
	v_mul_f32_e32 v128, 0xbe8c1d8e, v102
	;; [unrolled: 1-line block ×3, first 2 shown]
	v_sub_f32_e32 v122, v61, v83
	v_add_f32_e32 v49, v101, v49
	v_fma_f32 v101, 0xbf7ba420, v52, -v124
	v_mul_f32_e32 v131, 0xbf7ee86f, v111
	s_delay_alu instid0(VALU_DEP_4) | instskip(SKIP_1) | instid1(VALU_DEP_4)
	v_dual_sub_f32 v121, v67, v73 :: v_dual_mul_f32 v154, 0x3f763a35, v122
	v_mul_f32_e32 v168, 0xbeb8f4ab, v122
	v_dual_add_f32 v54, v101, v54 :: v_dual_mul_f32 v139, 0xbf1a4643, v99
	s_delay_alu instid0(VALU_DEP_4) | instskip(SKIP_3) | instid1(VALU_DEP_4)
	v_fma_f32 v100, 0x3dbcf732, v52, -v131
	v_fmamk_f32 v51, v157, 0xbf65296c, v165
	v_sub_f32_e32 v101, v78, v68
	v_mul_f32_e32 v159, 0x3f2c7751, v121
	v_dual_fmamk_f32 v103, v53, 0xbf4c4adb, v139 :: v_dual_add_f32 v48, v100, v48
	s_delay_alu instid0(VALU_DEP_4) | instskip(NEXT) | instid1(VALU_DEP_4)
	v_dual_add_f32 v51, v57, v51 :: v_dual_add_f32 v100, v68, v78
	v_fmamk_f32 v105, v101, 0x3e3c28d5, v146
	v_mul_f32_e32 v136, 0xbf06c442, v122
	s_delay_alu instid0(VALU_DEP_3) | instskip(NEXT) | instid1(VALU_DEP_4)
	v_dual_mul_f32 v132, 0xbf65296c, v121 :: v_dual_add_f32 v51, v103, v51
	v_fma_f32 v104, 0xbf1a4643, v100, -v134
	v_fmamk_f32 v103, v53, 0xbe3c28d5, v126
	v_mul_f32_e32 v162, 0x3f65296c, v123
	s_delay_alu instid0(VALU_DEP_3) | instskip(SKIP_3) | instid1(VALU_DEP_2)
	v_add_f32_e32 v48, v104, v48
	v_fma_f32 v104, 0xbf7ba420, v100, -v143
	v_fmamk_f32 v55, v157, 0xbf7ee86f, v169
	v_mul_f32_e32 v137, 0xbf1a4643, v102
	v_dual_add_f32 v50, v104, v50 :: v_dual_add_f32 v55, v57, v55
	v_fmamk_f32 v104, v101, 0x3f763a35, v128
	v_add_f32_e32 v51, v105, v51
	v_add_f32_e32 v105, v75, v65
	s_delay_alu instid0(VALU_DEP_1) | instskip(SKIP_3) | instid1(VALU_DEP_1)
	v_mul_f32_e32 v142, 0xbf7ba420, v105
	v_mul_f32_e32 v155, 0xbe8c1d8e, v105
	v_add_f32_e32 v55, v103, v55
	v_fmamk_f32 v103, v101, 0xbf4c4adb, v137
	v_add_f32_e32 v49, v103, v49
	v_fma_f32 v103, 0xbe8c1d8e, v100, -v127
	s_delay_alu instid0(VALU_DEP_1) | instskip(NEXT) | instid1(VALU_DEP_1)
	v_dual_add_f32 v54, v103, v54 :: v_dual_add_f32 v103, v74, v64
	v_fma_f32 v108, 0xbe8c1d8e, v103, -v151
	s_delay_alu instid0(VALU_DEP_1) | instskip(SKIP_3) | instid1(VALU_DEP_3)
	v_add_f32_e32 v50, v108, v50
	v_add_f32_e32 v108, v73, v67
	v_add_f32_e32 v55, v104, v55
	v_sub_f32_e32 v104, v64, v74
	v_mul_f32_e32 v164, 0x3f3d2fb0, v108
	v_mul_f32_e32 v150, 0xbf59a7d5, v108
	s_delay_alu instid0(VALU_DEP_3) | instskip(SKIP_1) | instid1(VALU_DEP_2)
	v_fmamk_f32 v107, v104, 0xbe3c28d5, v142
	v_mul_f32_e32 v130, 0x3f6eb680, v105
	v_add_f32_e32 v49, v107, v49
	v_sub_f32_e32 v107, v66, v72
	s_delay_alu instid0(VALU_DEP_1) | instskip(SKIP_2) | instid1(VALU_DEP_3)
	v_fmamk_f32 v110, v107, 0x3f06c442, v150
	v_fma_f32 v106, 0xbf7ba420, v103, -v140
	v_fmamk_f32 v113, v107, 0x3f2c7751, v164
	v_add_f32_e32 v49, v110, v49
	s_delay_alu instid0(VALU_DEP_3) | instskip(SKIP_1) | instid1(VALU_DEP_1)
	v_add_f32_e32 v48, v106, v48
	v_fmamk_f32 v106, v104, 0x3f763a35, v155
	v_dual_sub_f32 v110, v60, v82 :: v_dual_add_f32 v51, v106, v51
	v_add_f32_e32 v106, v72, v66
	s_delay_alu instid0(VALU_DEP_1) | instskip(NEXT) | instid1(VALU_DEP_1)
	v_fma_f32 v112, 0x3f3d2fb0, v106, -v159
	v_add_f32_e32 v50, v112, v50
	v_add_f32_e32 v112, v83, v61
	v_fma_f32 v109, 0x3f6eb680, v103, -v129
	v_mul_f32_e32 v147, 0x3f06c442, v121
	s_delay_alu instid0(VALU_DEP_3) | instskip(NEXT) | instid1(VALU_DEP_3)
	v_mul_f32_e32 v158, 0xbe8c1d8e, v112
	v_dual_add_f32 v54, v109, v54 :: v_dual_fmamk_f32 v109, v104, 0x3eb8f4ab, v130
	s_delay_alu instid0(VALU_DEP_1) | instskip(NEXT) | instid1(VALU_DEP_4)
	v_dual_fmamk_f32 v116, v110, 0x3f763a35, v158 :: v_dual_add_f32 v55, v109, v55
	v_fma_f32 v109, 0xbf59a7d5, v106, -v147
	s_delay_alu instid0(VALU_DEP_2) | instskip(NEXT) | instid1(VALU_DEP_2)
	v_dual_add_f32 v49, v116, v49 :: v_dual_add_f32 v116, v81, v63
	v_add_f32_e32 v48, v109, v48
	v_fma_f32 v109, 0x3ee437d1, v106, -v132
	s_delay_alu instid0(VALU_DEP_3) | instskip(SKIP_1) | instid1(VALU_DEP_3)
	v_mul_f32_e32 v174, 0x3dbcf732, v116
	v_mul_f32_e32 v166, 0x3ee437d1, v116
	v_dual_mul_f32 v145, 0xbf1a4643, v116 :: v_dual_add_f32 v54, v109, v54
	v_add_f32_e32 v109, v82, v60
	s_delay_alu instid0(VALU_DEP_1) | instskip(SKIP_1) | instid1(VALU_DEP_2)
	v_fma_f32 v117, 0x3f6eb680, v109, -v168
	v_fma_f32 v114, 0xbe8c1d8e, v109, -v154
	v_add_f32_e32 v50, v117, v50
	v_fma_f32 v117, 0xbf59a7d5, v109, -v136
	v_mul_f32_e32 v135, 0x3ee437d1, v108
	s_delay_alu instid0(VALU_DEP_4) | instskip(SKIP_1) | instid1(VALU_DEP_3)
	v_add_f32_e32 v48, v114, v48
	v_dual_sub_f32 v114, v62, v80 :: v_dual_add_f32 v51, v113, v51
	v_dual_add_f32 v54, v117, v54 :: v_dual_fmamk_f32 v113, v107, 0xbf65296c, v135
	v_mul_f32_e32 v141, 0xbf59a7d5, v112
	s_delay_alu instid0(VALU_DEP_3) | instskip(NEXT) | instid1(VALU_DEP_3)
	v_fmamk_f32 v125, v114, 0x3f65296c, v166
	v_dual_fmamk_f32 v148, v114, 0x3f4c4adb, v145 :: v_dual_add_f32 v55, v113, v55
	v_add_f32_e32 v113, v80, v62
	s_delay_alu instid0(VALU_DEP_1) | instskip(NEXT) | instid1(VALU_DEP_1)
	v_fma_f32 v117, 0x3dbcf732, v113, -v173
	v_dual_add_f32 v177, v117, v50 :: v_dual_fmamk_f32 v50, v114, 0xbf7ee86f, v174
	v_mul_f32_e32 v171, 0x3f6eb680, v112
	v_mul_f32_e32 v144, 0x3f4c4adb, v123
	v_fma_f32 v120, 0x3ee437d1, v113, -v162
	s_delay_alu instid0(VALU_DEP_1) | instskip(SKIP_1) | instid1(VALU_DEP_1)
	v_dual_fmamk_f32 v119, v110, 0xbeb8f4ab, v171 :: v_dual_add_f32 v48, v120, v48
	v_add_f32_e32 v120, v87, v85
	v_dual_add_f32 v49, v125, v49 :: v_dual_mul_f32 v172, 0x3f6eb680, v120
	v_sub_f32_e32 v125, v85, v87
	v_add_f32_e32 v117, v86, v84
	v_dual_add_f32 v51, v119, v51 :: v_dual_mul_f32 v176, 0xbf59a7d5, v120
	v_mul_f32_e32 v149, 0x3f3d2fb0, v120
	s_delay_alu instid0(VALU_DEP_4) | instskip(NEXT) | instid1(VALU_DEP_3)
	v_mul_f32_e32 v170, 0x3eb8f4ab, v125
	v_dual_mul_f32 v175, 0xbf06c442, v125 :: v_dual_add_f32 v178, v50, v51
	s_delay_alu instid0(VALU_DEP_2) | instskip(NEXT) | instid1(VALU_DEP_2)
	v_fma_f32 v50, 0x3f6eb680, v117, -v170
	v_fma_f32 v179, 0xbf59a7d5, v117, -v175
	v_fmamk_f32 v119, v110, 0xbf06c442, v141
	s_delay_alu instid0(VALU_DEP_1) | instskip(SKIP_1) | instid1(VALU_DEP_1)
	v_dual_add_f32 v50, v50, v48 :: v_dual_add_f32 v55, v119, v55
	v_fma_f32 v119, 0xbf1a4643, v113, -v144
	v_add_f32_e32 v54, v119, v54
	v_sub_f32_e32 v119, v84, v86
	s_delay_alu instid0(VALU_DEP_1) | instskip(SKIP_2) | instid1(VALU_DEP_2)
	v_dual_add_f32 v55, v148, v55 :: v_dual_fmamk_f32 v180, v119, 0xbf06c442, v176
	v_fmamk_f32 v48, v119, 0x3eb8f4ab, v172
	v_mul_f32_e32 v148, 0x3f2c7751, v125
	v_dual_fmamk_f32 v182, v119, 0x3f2c7751, v149 :: v_dual_add_f32 v51, v48, v49
	s_delay_alu instid0(VALU_DEP_2) | instskip(SKIP_1) | instid1(VALU_DEP_2)
	v_fma_f32 v181, 0x3f3d2fb0, v117, -v148
	v_dual_add_f32 v48, v179, v177 :: v_dual_add_f32 v49, v180, v178
	v_dual_add_f32 v55, v182, v55 :: v_dual_add_f32 v54, v181, v54
	s_and_saveexec_b32 s1, vcc_lo
	s_cbranch_execz .LBB0_17
; %bb.16:
	v_dual_add_f32 v59, v59, v57 :: v_dual_add_f32 v58, v58, v56
	s_delay_alu instid0(VALU_DEP_1) | instskip(NEXT) | instid1(VALU_DEP_1)
	v_dual_add_f32 v59, v77, v59 :: v_dual_add_f32 v58, v76, v58
	v_dual_add_f32 v59, v79, v59 :: v_dual_add_f32 v58, v78, v58
	v_mul_f32_e32 v79, 0xbf06c442, v153
	s_delay_alu instid0(VALU_DEP_2) | instskip(NEXT) | instid1(VALU_DEP_1)
	v_dual_mul_f32 v78, 0xbf763a35, v153 :: v_dual_add_f32 v59, v65, v59
	v_dual_add_f32 v58, v64, v58 :: v_dual_add_f32 v59, v67, v59
	s_delay_alu instid0(VALU_DEP_1) | instskip(NEXT) | instid1(VALU_DEP_1)
	v_dual_add_f32 v58, v66, v58 :: v_dual_add_f32 v59, v61, v59
	v_dual_add_f32 v58, v60, v58 :: v_dual_add_f32 v59, v63, v59
	s_delay_alu instid0(VALU_DEP_1) | instskip(NEXT) | instid1(VALU_DEP_1)
	v_dual_add_f32 v58, v62, v58 :: v_dual_add_f32 v59, v85, v59
	v_add_f32_e32 v58, v84, v58
	v_fma_f32 v84, 0xbe8c1d8e, v152, -v78
	s_delay_alu instid0(VALU_DEP_2) | instskip(NEXT) | instid1(VALU_DEP_1)
	v_dual_add_f32 v59, v87, v59 :: v_dual_add_f32 v58, v86, v58
	v_dual_add_f32 v59, v81, v59 :: v_dual_add_f32 v58, v80, v58
	s_delay_alu instid0(VALU_DEP_1) | instskip(NEXT) | instid1(VALU_DEP_2)
	v_dual_mul_f32 v80, 0xbf4c4adb, v153 :: v_dual_add_f32 v59, v83, v59
	v_add_f32_e32 v58, v82, v58
	s_delay_alu instid0(VALU_DEP_2) | instskip(SKIP_2) | instid1(VALU_DEP_4)
	v_fma_f32 v83, 0xbf1a4643, v152, -v80
	v_fma_f32 v82, 0xbf59a7d5, v152, -v79
	v_mul_f32_e32 v77, 0xbe3c28d5, v153
	v_dual_add_f32 v59, v73, v59 :: v_dual_add_f32 v58, v72, v58
	s_delay_alu instid0(VALU_DEP_3) | instskip(NEXT) | instid1(VALU_DEP_3)
	v_dual_fmac_f32 v79, 0xbf59a7d5, v152 :: v_dual_add_f32 v82, v56, v82
	v_fma_f32 v81, 0xbf7ba420, v152, -v77
	s_delay_alu instid0(VALU_DEP_3) | instskip(SKIP_1) | instid1(VALU_DEP_4)
	v_dual_add_f32 v59, v75, v59 :: v_dual_add_f32 v58, v74, v58
	v_add_f32_e32 v83, v56, v83
	v_add_f32_e32 v79, v56, v79
	s_delay_alu instid0(VALU_DEP_4) | instskip(NEXT) | instid1(VALU_DEP_4)
	v_add_f32_e32 v81, v56, v81
	v_dual_add_f32 v59, v69, v59 :: v_dual_add_f32 v58, v68, v58
	s_delay_alu instid0(VALU_DEP_1) | instskip(NEXT) | instid1(VALU_DEP_2)
	v_dual_fmac_f32 v77, 0xbf7ba420, v152 :: v_dual_add_f32 v60, v71, v59
	v_dual_add_f32 v61, v70, v58 :: v_dual_mul_f32 v58, 0xbf7ee86f, v157
	s_delay_alu instid0(VALU_DEP_1) | instskip(SKIP_2) | instid1(VALU_DEP_2)
	v_dual_add_f32 v77, v56, v77 :: v_dual_sub_f32 v62, v169, v58
	v_mul_f32_e32 v58, 0x3dbcf732, v152
	v_mul_f32_e32 v169, 0x3f65296c, v119
	v_dual_add_f32 v63, v58, v167 :: v_dual_mul_f32 v58, 0xbf65296c, v157
	s_delay_alu instid0(VALU_DEP_1) | instskip(SKIP_1) | instid1(VALU_DEP_1)
	v_dual_add_f32 v87, v56, v63 :: v_dual_sub_f32 v64, v165, v58
	v_mul_f32_e32 v58, 0x3ee437d1, v152
	v_dual_add_f32 v65, v58, v163 :: v_dual_mul_f32 v58, 0xbf2c7751, v157
	s_delay_alu instid0(VALU_DEP_1) | instskip(NEXT) | instid1(VALU_DEP_2)
	v_dual_fmac_f32 v80, 0xbf1a4643, v152 :: v_dual_add_f32 v63, v56, v65
	v_sub_f32_e32 v66, v161, v58
	v_mul_f32_e32 v58, 0x3f3d2fb0, v152
	s_delay_alu instid0(VALU_DEP_3) | instskip(NEXT) | instid1(VALU_DEP_2)
	v_add_f32_e32 v80, v56, v80
	v_dual_add_f32 v67, v58, v160 :: v_dual_mul_f32 v58, 0xbe3c28d5, v157
	s_delay_alu instid0(VALU_DEP_1) | instskip(NEXT) | instid1(VALU_DEP_2)
	v_add_f32_e32 v65, v56, v67
	v_fmamk_f32 v68, v156, 0xbf7ba420, v58
	v_fma_f32 v69, 0xbf7ba420, v156, -v58
	v_mul_f32_e32 v58, 0xbf06c442, v157
	s_delay_alu instid0(VALU_DEP_3) | instskip(NEXT) | instid1(VALU_DEP_2)
	v_add_f32_e32 v68, v57, v68
	v_dual_add_f32 v69, v57, v69 :: v_dual_fmamk_f32 v70, v156, 0xbf59a7d5, v58
	v_mul_f32_e32 v75, 0x3f6eb680, v156
	v_fma_f32 v71, 0xbf59a7d5, v156, -v58
	s_delay_alu instid0(VALU_DEP_2) | instskip(SKIP_1) | instid1(VALU_DEP_3)
	v_fmamk_f32 v76, v157, 0x3eb8f4ab, v75
	v_fmac_f32_e32 v75, 0xbeb8f4ab, v157
	v_dual_mul_f32 v58, 0xbf4c4adb, v157 :: v_dual_add_f32 v71, v57, v71
	s_delay_alu instid0(VALU_DEP_1) | instskip(SKIP_2) | instid1(VALU_DEP_3)
	v_dual_add_f32 v75, v57, v75 :: v_dual_fmamk_f32 v72, v156, 0xbf1a4643, v58
	v_fma_f32 v73, 0xbf1a4643, v156, -v58
	v_mul_f32_e32 v58, 0xbf763a35, v157
	v_add_f32_e32 v72, v57, v72
	s_delay_alu instid0(VALU_DEP_3) | instskip(NEXT) | instid1(VALU_DEP_3)
	v_add_f32_e32 v73, v57, v73
	v_fmamk_f32 v59, v156, 0xbe8c1d8e, v58
	v_fma_f32 v74, 0xbe8c1d8e, v156, -v58
	v_mul_f32_e32 v58, 0xbeb8f4ab, v153
	v_add_f32_e32 v70, v57, v70
	s_delay_alu instid0(VALU_DEP_4) | instskip(NEXT) | instid1(VALU_DEP_3)
	v_add_f32_e32 v59, v57, v59
	v_dual_add_f32 v74, v57, v74 :: v_dual_fmamk_f32 v85, v152, 0x3f6eb680, v58
	v_fma_f32 v86, 0x3f6eb680, v152, -v58
	v_add_f32_e32 v58, v56, v84
	v_add_f32_e32 v84, v57, v62
	s_delay_alu instid0(VALU_DEP_4) | instskip(SKIP_3) | instid1(VALU_DEP_3)
	v_dual_fmac_f32 v78, 0xbe8c1d8e, v152 :: v_dual_add_f32 v67, v56, v85
	v_dual_mul_f32 v85, 0x3f3d2fb0, v99 :: v_dual_add_f32 v62, v57, v64
	v_add_f32_e32 v64, v57, v66
	v_add_f32_e32 v66, v57, v76
	v_dual_add_f32 v57, v90, v60 :: v_dual_fmamk_f32 v60, v53, 0x3f2c7751, v85
	v_mul_f32_e32 v90, 0xbf1a4643, v112
	v_add_f32_e32 v76, v56, v86
	v_mul_f32_e32 v86, 0x3dbcf732, v105
	v_mul_f32_e32 v152, 0xbf2c7751, v111
	v_add_f32_e32 v60, v60, v66
	v_mul_f32_e32 v66, 0x3ee437d1, v102
	v_add_f32_e32 v78, v56, v78
	v_dual_add_f32 v56, v89, v61 :: v_dual_mul_f32 v89, 0xbe8c1d8e, v108
	v_fmac_f32_e32 v85, 0xbf2c7751, v53
	s_delay_alu instid0(VALU_DEP_4) | instskip(NEXT) | instid1(VALU_DEP_1)
	v_fmamk_f32 v61, v101, 0x3f65296c, v66
	v_dual_add_f32 v60, v61, v60 :: v_dual_fmamk_f32 v61, v104, 0x3f7ee86f, v86
	v_mul_f32_e32 v167, 0xbe3c28d5, v125
	v_mul_f32_e32 v165, 0xbf7ba420, v120
	s_delay_alu instid0(VALU_DEP_3) | instskip(NEXT) | instid1(VALU_DEP_1)
	v_dual_add_f32 v60, v61, v60 :: v_dual_fmamk_f32 v61, v107, 0x3f763a35, v89
	v_dual_fmac_f32 v89, 0xbf763a35, v107 :: v_dual_add_f32 v60, v61, v60
	v_fmamk_f32 v61, v110, 0x3f4c4adb, v90
	s_delay_alu instid0(VALU_DEP_1) | instskip(NEXT) | instid1(VALU_DEP_1)
	v_dual_add_f32 v60, v61, v60 :: v_dual_fmamk_f32 v61, v52, 0x3f3d2fb0, v152
	v_add_f32_e32 v61, v61, v67
	v_mul_f32_e32 v67, 0xbf65296c, v115
	s_delay_alu instid0(VALU_DEP_1) | instskip(SKIP_1) | instid1(VALU_DEP_2)
	v_fmamk_f32 v153, v100, 0x3ee437d1, v67
	v_fmac_f32_e32 v66, 0xbf65296c, v101
	v_add_f32_e32 v61, v153, v61
	v_mul_f32_e32 v153, 0xbf7ee86f, v118
	v_fmac_f32_e32 v90, 0xbf4c4adb, v110
	s_delay_alu instid0(VALU_DEP_2) | instskip(NEXT) | instid1(VALU_DEP_1)
	v_fmamk_f32 v156, v103, 0x3dbcf732, v153
	v_dual_add_f32 v61, v156, v61 :: v_dual_mul_f32 v156, 0xbf59a7d5, v116
	s_delay_alu instid0(VALU_DEP_1) | instskip(NEXT) | instid1(VALU_DEP_1)
	v_fmamk_f32 v157, v114, 0x3f06c442, v156
	v_dual_add_f32 v60, v157, v60 :: v_dual_mul_f32 v157, 0xbf763a35, v121
	s_delay_alu instid0(VALU_DEP_1) | instskip(NEXT) | instid1(VALU_DEP_1)
	;; [unrolled: 3-line block ×3, first 2 shown]
	v_fmamk_f32 v161, v109, 0xbf1a4643, v160
	v_add_f32_e32 v61, v161, v61
	v_mul_f32_e32 v161, 0xbf06c442, v123
	s_delay_alu instid0(VALU_DEP_1) | instskip(NEXT) | instid1(VALU_DEP_1)
	v_fmamk_f32 v163, v113, 0xbf59a7d5, v161
	v_dual_fmac_f32 v156, 0xbf06c442, v114 :: v_dual_add_f32 v163, v163, v61
	v_fmamk_f32 v61, v119, 0x3e3c28d5, v165
	s_delay_alu instid0(VALU_DEP_1) | instskip(SKIP_2) | instid1(VALU_DEP_2)
	v_add_f32_e32 v61, v61, v60
	v_fmamk_f32 v60, v117, 0xbf7ba420, v167
	v_fmac_f32_e32 v165, 0xbe3c28d5, v119
	v_dual_add_f32 v60, v60, v163 :: v_dual_mul_f32 v163, 0xbf4c4adb, v53
	s_delay_alu instid0(VALU_DEP_1) | instskip(NEXT) | instid1(VALU_DEP_1)
	v_sub_f32_e32 v139, v139, v163
	v_dual_add_f32 v62, v139, v62 :: v_dual_mul_f32 v139, 0x3e3c28d5, v101
	s_delay_alu instid0(VALU_DEP_1) | instskip(NEXT) | instid1(VALU_DEP_1)
	v_dual_sub_f32 v139, v146, v139 :: v_dual_mul_f32 v146, 0xbf1a4643, v52
	v_dual_add_f32 v62, v139, v62 :: v_dual_mul_f32 v139, 0x3f763a35, v104
	s_delay_alu instid0(VALU_DEP_1) | instskip(NEXT) | instid1(VALU_DEP_1)
	v_dual_add_f32 v138, v146, v138 :: v_dual_sub_f32 v139, v155, v139
	v_dual_add_f32 v63, v138, v63 :: v_dual_fmac_f32 v86, 0xbf7ee86f, v104
	s_delay_alu instid0(VALU_DEP_2) | instskip(NEXT) | instid1(VALU_DEP_1)
	v_dual_add_f32 v62, v139, v62 :: v_dual_mul_f32 v139, 0x3f2c7751, v107
	v_sub_f32_e32 v139, v164, v139
	s_delay_alu instid0(VALU_DEP_1) | instskip(SKIP_1) | instid1(VALU_DEP_1)
	v_add_f32_e32 v62, v139, v62
	v_mul_f32_e32 v139, 0xbeb8f4ab, v110
	v_dual_mul_f32 v138, 0xbf7ba420, v100 :: v_dual_sub_f32 v139, v171, v139
	s_delay_alu instid0(VALU_DEP_1) | instskip(NEXT) | instid1(VALU_DEP_1)
	v_add_f32_e32 v138, v138, v143
	v_dual_add_f32 v63, v138, v63 :: v_dual_add_f32 v62, v139, v62
	v_mul_f32_e32 v139, 0xbf7ee86f, v114
	s_delay_alu instid0(VALU_DEP_1) | instskip(NEXT) | instid1(VALU_DEP_1)
	v_sub_f32_e32 v139, v174, v139
	v_dual_add_f32 v62, v139, v62 :: v_dual_mul_f32 v139, 0xbf06c442, v119
	s_delay_alu instid0(VALU_DEP_1) | instskip(SKIP_1) | instid1(VALU_DEP_1)
	v_sub_f32_e32 v139, v176, v139
	v_mul_f32_e32 v138, 0xbe8c1d8e, v103
	v_add_f32_e32 v138, v138, v151
	v_mul_f32_e32 v151, 0xbf4c4adb, v119
	s_delay_alu instid0(VALU_DEP_2) | instskip(NEXT) | instid1(VALU_DEP_1)
	v_dual_add_f32 v63, v138, v63 :: v_dual_mul_f32 v138, 0x3f3d2fb0, v106
	v_add_f32_e32 v138, v138, v159
	s_delay_alu instid0(VALU_DEP_1) | instskip(NEXT) | instid1(VALU_DEP_1)
	v_dual_add_f32 v63, v138, v63 :: v_dual_mul_f32 v138, 0x3f6eb680, v109
	v_add_f32_e32 v138, v138, v168
	s_delay_alu instid0(VALU_DEP_1) | instskip(NEXT) | instid1(VALU_DEP_1)
	;; [unrolled: 3-line block ×3, first 2 shown]
	v_dual_add_f32 v138, v138, v63 :: v_dual_mul_f32 v63, 0xbf59a7d5, v117
	v_add_f32_e32 v143, v63, v175
	v_add_f32_e32 v63, v139, v62
	v_mul_f32_e32 v139, 0x3f7ee86f, v110
	s_delay_alu instid0(VALU_DEP_3) | instskip(SKIP_1) | instid1(VALU_DEP_1)
	v_add_f32_e32 v62, v143, v138
	v_mul_f32_e32 v138, 0xbf7ee86f, v53
	v_sub_f32_e32 v133, v133, v138
	s_delay_alu instid0(VALU_DEP_1) | instskip(NEXT) | instid1(VALU_DEP_1)
	v_dual_add_f32 v64, v133, v64 :: v_dual_mul_f32 v133, 0xbf4c4adb, v101
	v_sub_f32_e32 v133, v137, v133
	v_mul_f32_e32 v137, 0x3dbcf732, v52
	s_delay_alu instid0(VALU_DEP_2) | instskip(SKIP_1) | instid1(VALU_DEP_3)
	v_add_f32_e32 v64, v133, v64
	v_mul_f32_e32 v133, 0xbe3c28d5, v104
	v_add_f32_e32 v131, v137, v131
	s_delay_alu instid0(VALU_DEP_2) | instskip(NEXT) | instid1(VALU_DEP_1)
	v_dual_sub_f32 v133, v142, v133 :: v_dual_mul_f32 v142, 0xbeb8f4ab, v114
	v_dual_add_f32 v64, v133, v64 :: v_dual_mul_f32 v133, 0x3f06c442, v107
	s_delay_alu instid0(VALU_DEP_1) | instskip(NEXT) | instid1(VALU_DEP_4)
	v_sub_f32_e32 v133, v150, v133
	v_add_f32_e32 v65, v131, v65
	v_mul_f32_e32 v131, 0xbf1a4643, v100
	s_delay_alu instid0(VALU_DEP_3) | instskip(NEXT) | instid1(VALU_DEP_1)
	v_dual_add_f32 v64, v133, v64 :: v_dual_mul_f32 v133, 0x3f763a35, v110
	v_sub_f32_e32 v133, v158, v133
	s_delay_alu instid0(VALU_DEP_1) | instskip(SKIP_1) | instid1(VALU_DEP_1)
	v_dual_add_f32 v131, v131, v134 :: v_dual_add_f32 v64, v133, v64
	v_mul_f32_e32 v133, 0x3f65296c, v114
	v_sub_f32_e32 v133, v166, v133
	s_delay_alu instid0(VALU_DEP_3) | instskip(SKIP_2) | instid1(VALU_DEP_4)
	v_add_f32_e32 v65, v131, v65
	v_mul_f32_e32 v131, 0xbf7ba420, v103
	v_mul_f32_e32 v166, 0x3f65296c, v125
	v_dual_add_f32 v64, v133, v64 :: v_dual_mul_f32 v133, 0x3eb8f4ab, v119
	s_delay_alu instid0(VALU_DEP_3) | instskip(NEXT) | instid1(VALU_DEP_3)
	v_add_f32_e32 v131, v131, v140
	v_fma_f32 v168, 0x3ee437d1, v117, -v166
	v_fmac_f32_e32 v166, 0x3ee437d1, v117
	s_delay_alu instid0(VALU_DEP_4) | instskip(NEXT) | instid1(VALU_DEP_4)
	v_sub_f32_e32 v133, v172, v133
	v_add_f32_e32 v65, v131, v65
	v_mul_f32_e32 v131, 0xbf59a7d5, v106
	s_delay_alu instid0(VALU_DEP_1) | instskip(NEXT) | instid1(VALU_DEP_1)
	v_add_f32_e32 v131, v131, v147
	v_add_f32_e32 v65, v131, v65
	v_mul_f32_e32 v131, 0xbe8c1d8e, v109
	s_delay_alu instid0(VALU_DEP_1) | instskip(NEXT) | instid1(VALU_DEP_1)
	v_add_f32_e32 v131, v131, v154
	;; [unrolled: 4-line block ×3, first 2 shown]
	v_add_f32_e32 v131, v131, v65
	v_mul_f32_e32 v65, 0x3f6eb680, v117
	s_delay_alu instid0(VALU_DEP_1) | instskip(SKIP_1) | instid1(VALU_DEP_2)
	v_add_f32_e32 v134, v65, v170
	v_add_f32_e32 v65, v133, v64
	v_dual_mul_f32 v133, 0x3f06c442, v53 :: v_dual_add_f32 v64, v134, v131
	v_mul_lo_u16 v131, v97, 17
	v_mul_f32_e32 v134, 0xbf65296c, v104
	s_delay_alu instid0(VALU_DEP_2) | instskip(NEXT) | instid1(VALU_DEP_1)
	v_and_b32_e32 v131, 0xffff, v131
	v_lshlrev_b32_e32 v131, 3, v131
	ds_store_2addr_b64 v131, v[56:57], v[60:61] offset1:1
	ds_store_2addr_b64 v131, v[64:65], v[62:63] offset0:2 offset1:3
	v_fma_f32 v56, 0xbf59a7d5, v99, -v133
	v_mul_f32_e32 v62, 0xbf7ba420, v52
	v_mul_f32_e32 v63, 0xbe8c1d8e, v100
	;; [unrolled: 1-line block ×3, first 2 shown]
	s_delay_alu instid0(VALU_DEP_4) | instskip(SKIP_1) | instid1(VALU_DEP_4)
	v_dual_mul_f32 v65, 0xbf763a35, v125 :: v_dual_add_f32 v56, v56, v74
	v_mul_f32_e32 v74, 0x3f2c7751, v101
	v_dual_add_f32 v62, v62, v124 :: v_dual_add_f32 v63, v63, v127
	s_delay_alu instid0(VALU_DEP_4) | instskip(SKIP_1) | instid1(VALU_DEP_4)
	v_fma_f32 v150, 0xbf1a4643, v117, -v61
	v_fmac_f32_e32 v61, 0xbf1a4643, v117
	v_fma_f32 v57, 0x3f3d2fb0, v102, -v74
	s_delay_alu instid0(VALU_DEP_4) | instskip(NEXT) | instid1(VALU_DEP_2)
	v_dual_add_f32 v62, v62, v87 :: v_dual_mul_f32 v87, 0x3f4c4adb, v104
	v_dual_mul_f32 v127, 0xbe3c28d5, v110 :: v_dual_add_f32 v56, v57, v56
	v_fma_f32 v57, 0x3ee437d1, v105, -v134
	s_delay_alu instid0(VALU_DEP_3) | instskip(NEXT) | instid1(VALU_DEP_2)
	v_dual_add_f32 v62, v63, v62 :: v_dual_mul_f32 v63, 0x3f6eb680, v103
	v_dual_add_f32 v56, v57, v56 :: v_dual_mul_f32 v57, 0x3f06c442, v111
	s_delay_alu instid0(VALU_DEP_2) | instskip(SKIP_1) | instid1(VALU_DEP_3)
	v_add_f32_e32 v63, v63, v129
	v_mul_f32_e32 v129, 0x3f2c7751, v114
	v_fma_f32 v137, 0xbf59a7d5, v52, -v57
	s_delay_alu instid0(VALU_DEP_1) | instskip(NEXT) | instid1(VALU_DEP_1)
	v_dual_fmac_f32 v57, 0xbf59a7d5, v52 :: v_dual_add_f32 v58, v137, v58
	v_dual_add_f32 v57, v57, v78 :: v_dual_mul_f32 v78, 0xbe3c28d5, v107
	s_delay_alu instid0(VALU_DEP_1) | instskip(NEXT) | instid1(VALU_DEP_1)
	v_fma_f32 v60, 0xbf7ba420, v108, -v78
	v_add_f32_e32 v56, v60, v56
	v_mul_f32_e32 v60, 0x3f2c7751, v115
	s_delay_alu instid0(VALU_DEP_1) | instskip(SKIP_1) | instid1(VALU_DEP_1)
	v_fma_f32 v138, 0x3f3d2fb0, v100, -v60
	v_fmac_f32_e32 v60, 0x3f3d2fb0, v100
	v_dual_add_f32 v58, v138, v58 :: v_dual_add_f32 v57, v60, v57
	v_fma_f32 v60, 0x3dbcf732, v112, -v139
	s_delay_alu instid0(VALU_DEP_1) | instskip(SKIP_1) | instid1(VALU_DEP_1)
	v_add_f32_e32 v56, v60, v56
	v_mul_f32_e32 v60, 0xbf65296c, v118
	v_fma_f32 v140, 0x3ee437d1, v103, -v60
	v_fmac_f32_e32 v60, 0x3ee437d1, v103
	s_delay_alu instid0(VALU_DEP_2) | instskip(NEXT) | instid1(VALU_DEP_2)
	v_add_f32_e32 v58, v140, v58
	v_add_f32_e32 v57, v60, v57
	v_fma_f32 v60, 0x3f6eb680, v116, -v142
	s_delay_alu instid0(VALU_DEP_1) | instskip(SKIP_1) | instid1(VALU_DEP_1)
	v_add_f32_e32 v56, v60, v56
	v_mul_f32_e32 v60, 0xbe3c28d5, v121
	v_fma_f32 v143, 0xbf7ba420, v106, -v60
	v_fmac_f32_e32 v60, 0xbf7ba420, v106
	s_delay_alu instid0(VALU_DEP_1) | instskip(SKIP_1) | instid1(VALU_DEP_1)
	v_dual_add_f32 v58, v143, v58 :: v_dual_add_f32 v57, v60, v57
	v_mul_f32_e32 v60, 0x3f7ee86f, v122
	v_fma_f32 v146, 0x3dbcf732, v109, -v60
	v_fmac_f32_e32 v60, 0x3dbcf732, v109
	s_delay_alu instid0(VALU_DEP_1) | instskip(SKIP_1) | instid1(VALU_DEP_1)
	v_dual_add_f32 v58, v146, v58 :: v_dual_add_f32 v57, v60, v57
	v_mul_f32_e32 v60, 0xbeb8f4ab, v123
	v_fma_f32 v147, 0x3f6eb680, v113, -v60
	v_fmac_f32_e32 v60, 0x3f6eb680, v113
	s_delay_alu instid0(VALU_DEP_2) | instskip(NEXT) | instid1(VALU_DEP_2)
	v_add_f32_e32 v58, v147, v58
	v_add_f32_e32 v60, v60, v57
	v_fma_f32 v57, 0xbf1a4643, v120, -v151
	s_delay_alu instid0(VALU_DEP_1) | instskip(NEXT) | instid1(VALU_DEP_3)
	v_add_f32_e32 v57, v57, v56
	v_add_f32_e32 v56, v61, v60
	v_mul_f32_e32 v60, 0xbe3c28d5, v53
	s_delay_alu instid0(VALU_DEP_1) | instskip(NEXT) | instid1(VALU_DEP_1)
	v_dual_mul_f32 v61, 0x3f763a35, v101 :: v_dual_sub_f32 v60, v126, v60
	v_sub_f32_e32 v61, v128, v61
	s_delay_alu instid0(VALU_DEP_2) | instskip(SKIP_1) | instid1(VALU_DEP_2)
	v_add_f32_e32 v60, v60, v84
	v_mul_f32_e32 v84, 0x3f65296c, v53
	v_add_f32_e32 v60, v61, v60
	v_mul_f32_e32 v61, 0x3eb8f4ab, v104
	s_delay_alu instid0(VALU_DEP_1) | instskip(NEXT) | instid1(VALU_DEP_1)
	v_sub_f32_e32 v61, v130, v61
	v_dual_add_f32 v60, v61, v60 :: v_dual_mul_f32 v61, 0xbf65296c, v107
	s_delay_alu instid0(VALU_DEP_1) | instskip(NEXT) | instid1(VALU_DEP_1)
	v_sub_f32_e32 v61, v135, v61
	v_dual_add_f32 v60, v61, v60 :: v_dual_mul_f32 v61, 0xbf06c442, v110
	s_delay_alu instid0(VALU_DEP_1) | instskip(NEXT) | instid1(VALU_DEP_1)
	v_sub_f32_e32 v61, v141, v61
	v_dual_mul_f32 v141, 0xbf763a35, v119 :: v_dual_add_f32 v60, v61, v60
	v_add_f32_e32 v61, v63, v62
	v_mul_f32_e32 v62, 0x3ee437d1, v106
	s_delay_alu instid0(VALU_DEP_1) | instskip(NEXT) | instid1(VALU_DEP_1)
	v_add_f32_e32 v62, v62, v132
	v_add_f32_e32 v61, v62, v61
	v_mul_f32_e32 v62, 0xbf59a7d5, v109
	s_delay_alu instid0(VALU_DEP_1) | instskip(SKIP_3) | instid1(VALU_DEP_4)
	v_add_f32_e32 v62, v62, v136
	v_fma_f32 v136, 0xbe8c1d8e, v117, -v65
	v_fmac_f32_e32 v65, 0xbe8c1d8e, v117
	v_mul_f32_e32 v63, 0x3f4c4adb, v114
	v_add_f32_e32 v61, v62, v61
	s_delay_alu instid0(VALU_DEP_2) | instskip(SKIP_1) | instid1(VALU_DEP_2)
	v_dual_mul_f32 v62, 0xbf1a4643, v113 :: v_dual_sub_f32 v63, v145, v63
	v_mul_f32_e32 v145, 0xbf06c442, v104
	v_add_f32_e32 v62, v62, v144
	v_mul_f32_e32 v144, 0x3f763a35, v53
	s_delay_alu instid0(VALU_DEP_4) | instskip(NEXT) | instid1(VALU_DEP_3)
	v_dual_add_f32 v60, v63, v60 :: v_dual_mul_f32 v63, 0x3f2c7751, v119
	v_add_f32_e32 v62, v62, v61
	v_mul_f32_e32 v61, 0x3f3d2fb0, v117
	s_delay_alu instid0(VALU_DEP_3) | instskip(NEXT) | instid1(VALU_DEP_2)
	v_sub_f32_e32 v63, v149, v63
	v_add_f32_e32 v64, v61, v148
	s_delay_alu instid0(VALU_DEP_2) | instskip(NEXT) | instid1(VALU_DEP_2)
	v_dual_mul_f32 v148, 0x3f7ee86f, v107 :: v_dual_add_f32 v61, v63, v60
	v_add_f32_e32 v60, v64, v62
	v_fma_f32 v62, 0x3ee437d1, v99, -v84
	s_delay_alu instid0(VALU_DEP_1) | instskip(NEXT) | instid1(VALU_DEP_1)
	v_dual_add_f32 v62, v62, v71 :: v_dual_mul_f32 v71, 0xbf7ee86f, v101
	v_fma_f32 v63, 0x3dbcf732, v102, -v71
	s_delay_alu instid0(VALU_DEP_1) | instskip(SKIP_1) | instid1(VALU_DEP_1)
	v_add_f32_e32 v62, v63, v62
	v_fma_f32 v63, 0xbf1a4643, v105, -v87
	v_dual_add_f32 v62, v63, v62 :: v_dual_mul_f32 v63, 0x3f65296c, v111
	s_delay_alu instid0(VALU_DEP_1) | instskip(SKIP_1) | instid1(VALU_DEP_1)
	v_fma_f32 v124, 0x3ee437d1, v52, -v63
	v_fmac_f32_e32 v63, 0x3ee437d1, v52
	v_add_f32_e32 v63, v63, v79
	v_mul_f32_e32 v79, 0xbeb8f4ab, v107
	s_delay_alu instid0(VALU_DEP_1) | instskip(NEXT) | instid1(VALU_DEP_1)
	v_fma_f32 v64, 0x3f6eb680, v108, -v79
	v_add_f32_e32 v62, v64, v62
	v_mul_f32_e32 v64, 0xbf7ee86f, v115
	s_delay_alu instid0(VALU_DEP_1) | instskip(SKIP_1) | instid1(VALU_DEP_1)
	v_fma_f32 v126, 0x3dbcf732, v100, -v64
	v_fmac_f32_e32 v64, 0x3dbcf732, v100
	v_add_f32_e32 v63, v64, v63
	v_fma_f32 v64, 0xbf7ba420, v112, -v127
	s_delay_alu instid0(VALU_DEP_1) | instskip(SKIP_1) | instid1(VALU_DEP_1)
	v_add_f32_e32 v62, v64, v62
	v_mul_f32_e32 v64, 0x3f4c4adb, v118
	v_fma_f32 v128, 0xbf1a4643, v103, -v64
	v_fmac_f32_e32 v64, 0xbf1a4643, v103
	s_delay_alu instid0(VALU_DEP_1) | instskip(SKIP_1) | instid1(VALU_DEP_1)
	v_add_f32_e32 v63, v64, v63
	v_fma_f32 v64, 0x3f3d2fb0, v116, -v129
	v_add_f32_e32 v62, v64, v62
	v_mul_f32_e32 v64, 0xbeb8f4ab, v121
	s_delay_alu instid0(VALU_DEP_1) | instskip(SKIP_1) | instid1(VALU_DEP_1)
	v_fma_f32 v130, 0x3f6eb680, v106, -v64
	v_fmac_f32_e32 v64, 0x3f6eb680, v106
	v_dual_add_f32 v63, v64, v63 :: v_dual_mul_f32 v64, 0xbe3c28d5, v122
	s_delay_alu instid0(VALU_DEP_1) | instskip(SKIP_1) | instid1(VALU_DEP_1)
	v_fma_f32 v132, 0xbf7ba420, v109, -v64
	v_fmac_f32_e32 v64, 0xbf7ba420, v109
	v_add_f32_e32 v63, v64, v63
	v_mul_f32_e32 v64, 0x3f2c7751, v123
	s_delay_alu instid0(VALU_DEP_1) | instskip(SKIP_1) | instid1(VALU_DEP_1)
	v_fma_f32 v135, 0x3f3d2fb0, v113, -v64
	v_fmac_f32_e32 v64, 0x3f3d2fb0, v113
	v_add_f32_e32 v64, v64, v63
	v_fma_f32 v63, 0xbe8c1d8e, v120, -v141
	s_delay_alu instid0(VALU_DEP_1) | instskip(SKIP_1) | instid1(VALU_DEP_1)
	v_dual_add_f32 v63, v63, v62 :: v_dual_add_f32 v62, v65, v64
	v_fma_f32 v64, 0xbe8c1d8e, v99, -v144
	v_add_f32_e32 v64, v64, v73
	v_mul_f32_e32 v73, 0xbeb8f4ab, v101
	s_delay_alu instid0(VALU_DEP_1) | instskip(NEXT) | instid1(VALU_DEP_1)
	v_fma_f32 v65, 0x3f6eb680, v102, -v73
	v_add_f32_e32 v64, v65, v64
	v_fma_f32 v65, 0xbf59a7d5, v105, -v145
	s_delay_alu instid0(VALU_DEP_1) | instskip(SKIP_1) | instid1(VALU_DEP_1)
	v_add_f32_e32 v64, v65, v64
	v_fma_f32 v65, 0x3dbcf732, v108, -v148
	v_dual_add_f32 v64, v65, v64 :: v_dual_mul_f32 v65, 0x3f763a35, v111
	s_delay_alu instid0(VALU_DEP_1) | instskip(SKIP_1) | instid1(VALU_DEP_1)
	v_fma_f32 v149, 0xbe8c1d8e, v52, -v65
	v_fmac_f32_e32 v65, 0xbe8c1d8e, v52
	v_dual_add_f32 v65, v65, v80 :: v_dual_mul_f32 v80, 0xbeb8f4ab, v115
	s_delay_alu instid0(VALU_DEP_1) | instskip(SKIP_1) | instid1(VALU_DEP_1)
	v_fma_f32 v154, 0x3f6eb680, v100, -v80
	v_fmac_f32_e32 v80, 0x3f6eb680, v100
	v_dual_add_f32 v65, v80, v65 :: v_dual_mul_f32 v80, 0xbf2c7751, v110
	s_delay_alu instid0(VALU_DEP_1) | instskip(NEXT) | instid1(VALU_DEP_1)
	v_fma_f32 v155, 0x3f3d2fb0, v112, -v80
	v_dual_add_f32 v64, v155, v64 :: v_dual_mul_f32 v155, 0xbf06c442, v118
	s_delay_alu instid0(VALU_DEP_1) | instskip(SKIP_1) | instid1(VALU_DEP_1)
	v_fma_f32 v158, 0xbf59a7d5, v103, -v155
	v_fmac_f32_e32 v155, 0xbf59a7d5, v103
	v_add_f32_e32 v65, v155, v65
	v_mul_f32_e32 v155, 0xbe3c28d5, v114
	s_delay_alu instid0(VALU_DEP_1) | instskip(NEXT) | instid1(VALU_DEP_1)
	v_fma_f32 v159, 0xbf7ba420, v116, -v155
	v_dual_add_f32 v64, v159, v64 :: v_dual_mul_f32 v159, 0x3f7ee86f, v121
	s_delay_alu instid0(VALU_DEP_1) | instskip(SKIP_1) | instid1(VALU_DEP_1)
	v_fma_f32 v162, 0x3dbcf732, v106, -v159
	v_fmac_f32_e32 v159, 0x3dbcf732, v106
	v_add_f32_e32 v65, v159, v65
	v_mul_f32_e32 v159, 0xbf2c7751, v122
	s_delay_alu instid0(VALU_DEP_1) | instskip(SKIP_1) | instid1(VALU_DEP_1)
	v_fma_f32 v163, 0x3f3d2fb0, v109, -v159
	v_fmac_f32_e32 v159, 0x3f3d2fb0, v109
	v_add_f32_e32 v65, v159, v65
	v_mul_f32_e32 v159, 0xbe3c28d5, v123
	s_delay_alu instid0(VALU_DEP_1) | instskip(SKIP_1) | instid1(VALU_DEP_1)
	v_fma_f32 v164, 0xbf7ba420, v113, -v159
	v_fmac_f32_e32 v159, 0xbf7ba420, v113
	v_add_f32_e32 v159, v159, v65
	v_fma_f32 v65, 0x3ee437d1, v120, -v169
	s_delay_alu instid0(VALU_DEP_1)
	v_dual_add_f32 v65, v65, v64 :: v_dual_add_f32 v64, v166, v159
	ds_store_2addr_b64 v131, v[60:61], v[56:57] offset0:4 offset1:5
	ds_store_2addr_b64 v131, v[64:65], v[62:63] offset0:6 offset1:7
	v_mul_f32_e32 v60, 0x3eb8f4ab, v53
	v_mul_f32_e32 v62, 0xbf06c442, v101
	;; [unrolled: 1-line block ×3, first 2 shown]
	s_delay_alu instid0(VALU_DEP_3) | instskip(NEXT) | instid1(VALU_DEP_3)
	v_dual_add_f32 v53, v85, v75 :: v_dual_fmamk_f32 v56, v99, 0x3f6eb680, v60
	v_fmamk_f32 v63, v102, 0xbf59a7d5, v62
	s_delay_alu instid0(VALU_DEP_3)
	v_fma_f32 v57, 0x3f6eb680, v52, -v61
	v_fmac_f32_e32 v61, 0x3f6eb680, v52
	v_fma_f32 v60, 0x3f6eb680, v99, -v60
	v_add_f32_e32 v56, v56, v68
	v_fma_f32 v62, 0xbf59a7d5, v102, -v62
	v_add_f32_e32 v57, v57, v81
	v_add_f32_e32 v61, v61, v77
	;; [unrolled: 1-line block ×3, first 2 shown]
	v_dual_add_f32 v56, v63, v56 :: v_dual_mul_f32 v63, 0xbf06c442, v115
	v_fma_f32 v52, 0x3f3d2fb0, v52, -v152
	v_add_f32_e32 v53, v66, v53
	s_delay_alu instid0(VALU_DEP_4) | instskip(NEXT) | instid1(VALU_DEP_4)
	v_add_f32_e32 v60, v62, v60
	v_fma_f32 v64, 0xbf59a7d5, v100, -v63
	v_fmac_f32_e32 v63, 0xbf59a7d5, v100
	s_delay_alu instid0(VALU_DEP_4) | instskip(NEXT) | instid1(VALU_DEP_3)
	v_dual_add_f32 v52, v52, v76 :: v_dual_add_f32 v53, v86, v53
	v_add_f32_e32 v57, v64, v57
	s_delay_alu instid0(VALU_DEP_3) | instskip(SKIP_1) | instid1(VALU_DEP_4)
	v_add_f32_e32 v61, v63, v61
	v_dual_add_f32 v63, v149, v83 :: v_dual_mul_f32 v64, 0x3f2c7751, v104
	v_add_f32_e32 v53, v89, v53
	s_delay_alu instid0(VALU_DEP_2) | instskip(NEXT) | instid1(VALU_DEP_3)
	v_add_f32_e32 v63, v154, v63
	v_fmamk_f32 v65, v105, 0x3f3d2fb0, v64
	v_fma_f32 v62, 0x3f3d2fb0, v105, -v64
	v_fmamk_f32 v64, v102, 0x3f6eb680, v73
	v_add_f32_e32 v53, v90, v53
	s_delay_alu instid0(VALU_DEP_4) | instskip(NEXT) | instid1(VALU_DEP_2)
	v_dual_add_f32 v63, v158, v63 :: v_dual_add_f32 v56, v65, v56
	v_dual_add_f32 v60, v62, v60 :: v_dual_add_f32 v53, v156, v53
	s_delay_alu instid0(VALU_DEP_2) | instskip(NEXT) | instid1(VALU_DEP_2)
	v_add_f32_e32 v63, v162, v63
	v_add_f32_e32 v53, v165, v53
	s_delay_alu instid0(VALU_DEP_2) | instskip(SKIP_1) | instid1(VALU_DEP_1)
	v_add_f32_e32 v63, v163, v63
	v_mul_f32_e32 v65, 0x3f2c7751, v118
	v_fma_f32 v68, 0x3f3d2fb0, v103, -v65
	v_fmac_f32_e32 v65, 0x3f3d2fb0, v103
	s_delay_alu instid0(VALU_DEP_2) | instskip(NEXT) | instid1(VALU_DEP_1)
	v_dual_add_f32 v57, v68, v57 :: v_dual_mul_f32 v68, 0xbf4c4adb, v107
	v_fmamk_f32 v81, v108, 0xbf1a4643, v68
	v_fma_f32 v62, 0xbf1a4643, v108, -v68
	s_delay_alu instid0(VALU_DEP_4) | instskip(NEXT) | instid1(VALU_DEP_3)
	v_dual_fmamk_f32 v68, v102, 0x3dbcf732, v71 :: v_dual_add_f32 v61, v65, v61
	v_dual_add_f32 v65, v124, v82 :: v_dual_add_f32 v56, v81, v56
	s_delay_alu instid0(VALU_DEP_3) | instskip(NEXT) | instid1(VALU_DEP_2)
	v_dual_mul_f32 v81, 0xbf4c4adb, v121 :: v_dual_add_f32 v60, v62, v60
	v_add_f32_e32 v65, v126, v65
	s_delay_alu instid0(VALU_DEP_2) | instskip(SKIP_1) | instid1(VALU_DEP_3)
	v_fma_f32 v111, 0xbf1a4643, v106, -v81
	v_fmac_f32_e32 v81, 0xbf1a4643, v106
	v_add_f32_e32 v65, v128, v65
	s_delay_alu instid0(VALU_DEP_3) | instskip(SKIP_1) | instid1(VALU_DEP_4)
	v_add_f32_e32 v57, v111, v57
	v_mul_f32_e32 v111, 0x3f65296c, v110
	v_add_f32_e32 v61, v81, v61
	s_delay_alu instid0(VALU_DEP_4) | instskip(NEXT) | instid1(VALU_DEP_3)
	v_add_f32_e32 v65, v130, v65
	v_fmamk_f32 v115, v112, 0x3ee437d1, v111
	v_fma_f32 v62, 0x3ee437d1, v112, -v111
	s_delay_alu instid0(VALU_DEP_2) | instskip(NEXT) | instid1(VALU_DEP_2)
	v_dual_add_f32 v65, v132, v65 :: v_dual_add_f32 v56, v115, v56
	v_dual_mul_f32 v115, 0x3f65296c, v122 :: v_dual_add_f32 v60, v62, v60
	s_delay_alu instid0(VALU_DEP_1) | instskip(SKIP_1) | instid1(VALU_DEP_2)
	v_fma_f32 v118, 0x3ee437d1, v109, -v115
	v_fmac_f32_e32 v115, 0x3ee437d1, v109
	v_dual_add_f32 v57, v118, v57 :: v_dual_mul_f32 v118, 0xbf763a35, v114
	s_delay_alu instid0(VALU_DEP_2) | instskip(NEXT) | instid1(VALU_DEP_2)
	v_add_f32_e32 v61, v115, v61
	v_fmamk_f32 v121, v116, 0xbe8c1d8e, v118
	v_fma_f32 v62, 0xbe8c1d8e, v116, -v118
	s_delay_alu instid0(VALU_DEP_2) | instskip(SKIP_1) | instid1(VALU_DEP_3)
	v_dual_add_f32 v56, v121, v56 :: v_dual_mul_f32 v121, 0xbf763a35, v123
	v_mul_f32_e32 v123, 0x3f7ee86f, v125
	v_dual_mul_f32 v125, 0x3f7ee86f, v119 :: v_dual_add_f32 v60, v62, v60
	s_delay_alu instid0(VALU_DEP_3) | instskip(SKIP_1) | instid1(VALU_DEP_2)
	v_fma_f32 v122, 0xbe8c1d8e, v113, -v121
	v_fmac_f32_e32 v121, 0xbe8c1d8e, v113
	v_dual_add_f32 v122, v122, v57 :: v_dual_fmamk_f32 v57, v120, 0x3dbcf732, v125
	s_delay_alu instid0(VALU_DEP_2) | instskip(SKIP_1) | instid1(VALU_DEP_3)
	v_add_f32_e32 v62, v121, v61
	v_fma_f32 v61, 0x3dbcf732, v120, -v125
	v_add_f32_e32 v57, v57, v56
	v_fma_f32 v56, 0x3dbcf732, v117, -v123
	v_fmac_f32_e32 v123, 0x3dbcf732, v117
	s_delay_alu instid0(VALU_DEP_2) | instskip(NEXT) | instid1(VALU_DEP_2)
	v_dual_add_f32 v61, v61, v60 :: v_dual_add_f32 v56, v56, v122
	v_add_f32_e32 v60, v123, v62
	v_fmamk_f32 v62, v99, 0xbe8c1d8e, v144
	s_delay_alu instid0(VALU_DEP_1) | instskip(NEXT) | instid1(VALU_DEP_1)
	v_add_f32_e32 v62, v62, v72
	v_add_f32_e32 v62, v64, v62
	v_fmamk_f32 v64, v105, 0xbf59a7d5, v145
	s_delay_alu instid0(VALU_DEP_1) | instskip(SKIP_1) | instid1(VALU_DEP_1)
	v_add_f32_e32 v62, v64, v62
	v_fmamk_f32 v64, v108, 0x3dbcf732, v148
	v_add_f32_e32 v62, v64, v62
	v_fmamk_f32 v64, v112, 0x3f3d2fb0, v80
	ds_store_2addr_b64 v131, v[60:61], v[56:57] offset0:8 offset1:9
	v_fmamk_f32 v56, v99, 0xbf59a7d5, v133
	v_dual_fmamk_f32 v57, v102, 0x3f3d2fb0, v74 :: v_dual_add_f32 v62, v64, v62
	v_fmamk_f32 v64, v116, 0xbf7ba420, v155
	s_delay_alu instid0(VALU_DEP_3) | instskip(NEXT) | instid1(VALU_DEP_2)
	v_add_f32_e32 v56, v56, v59
	v_add_f32_e32 v62, v64, v62
	s_delay_alu instid0(VALU_DEP_2) | instskip(SKIP_1) | instid1(VALU_DEP_1)
	v_add_f32_e32 v56, v57, v56
	v_fmamk_f32 v57, v105, 0x3ee437d1, v134
	v_dual_add_f32 v56, v57, v56 :: v_dual_fmamk_f32 v57, v108, 0xbf7ba420, v78
	s_delay_alu instid0(VALU_DEP_1) | instskip(NEXT) | instid1(VALU_DEP_1)
	v_dual_add_f32 v56, v57, v56 :: v_dual_fmamk_f32 v57, v112, 0x3dbcf732, v139
	v_add_f32_e32 v56, v57, v56
	v_add_f32_e32 v64, v164, v63
	v_fmamk_f32 v63, v120, 0x3ee437d1, v169
	v_fmamk_f32 v57, v116, 0x3f6eb680, v142
	s_delay_alu instid0(VALU_DEP_1) | instskip(NEXT) | instid1(VALU_DEP_4)
	v_dual_add_f32 v63, v63, v62 :: v_dual_add_f32 v56, v57, v56
	v_add_f32_e32 v62, v168, v64
	v_fmamk_f32 v64, v99, 0x3ee437d1, v84
	v_fmamk_f32 v57, v120, 0xbf1a4643, v151
	s_delay_alu instid0(VALU_DEP_1) | instskip(SKIP_2) | instid1(VALU_DEP_3)
	v_dual_add_f32 v64, v64, v70 :: v_dual_add_f32 v57, v57, v56
	v_add_f32_e32 v56, v150, v58
	v_fma_f32 v58, 0x3ee437d1, v100, -v67
	v_add_f32_e32 v64, v68, v64
	v_fmamk_f32 v68, v105, 0xbf1a4643, v87
	s_delay_alu instid0(VALU_DEP_3) | instskip(SKIP_1) | instid1(VALU_DEP_3)
	v_add_f32_e32 v52, v58, v52
	v_fma_f32 v58, 0x3dbcf732, v103, -v153
	v_add_f32_e32 v64, v68, v64
	v_fmamk_f32 v68, v108, 0x3f6eb680, v79
	s_delay_alu instid0(VALU_DEP_3) | instskip(SKIP_1) | instid1(VALU_DEP_3)
	;; [unrolled: 5-line block ×4, first 2 shown]
	v_add_f32_e32 v52, v58, v52
	v_fma_f32 v58, 0xbf59a7d5, v113, -v161
	v_add_f32_e32 v64, v68, v64
	v_dual_add_f32 v68, v135, v65 :: v_dual_fmamk_f32 v65, v120, 0xbe8c1d8e, v141
	s_delay_alu instid0(VALU_DEP_3) | instskip(SKIP_1) | instid1(VALU_DEP_3)
	v_add_f32_e32 v52, v58, v52
	v_fma_f32 v58, 0xbf7ba420, v117, -v167
	v_add_f32_e32 v65, v65, v64
	s_delay_alu instid0(VALU_DEP_4) | instskip(NEXT) | instid1(VALU_DEP_3)
	v_add_f32_e32 v64, v136, v68
	v_add_f32_e32 v52, v58, v52
	ds_store_2addr_b64 v131, v[64:65], v[62:63] offset0:10 offset1:11
	ds_store_2addr_b64 v131, v[56:57], v[54:55] offset0:12 offset1:13
	;; [unrolled: 1-line block ×3, first 2 shown]
	ds_store_b64 v131, v[52:53] offset:128
.LBB0_17:
	s_wait_alu 0xfffe
	s_or_b32 exec_lo, exec_lo, s1
	global_wb scope:SCOPE_SE
	s_wait_dscnt 0x0
	s_barrier_signal -1
	s_barrier_wait -1
	global_inv scope:SCOPE_SE
	ds_load_2addr_b64 v[56:59], v96 offset1:136
	v_add_nc_u32_e32 v52, 0x800, v96
	s_wait_dscnt 0x0
	v_dual_mul_f32 v80, v21, v59 :: v_dual_add_nc_u32 v53, 0x1000, v96
	v_mul_f32_e32 v21, v21, v58
	ds_load_2addr_b64 v[60:63], v52 offset0:16 offset1:152
	ds_load_2addr_b64 v[64:67], v53 offset0:32 offset1:168
	v_add_nc_u32_e32 v68, 0x1800, v96
	v_add_nc_u32_e32 v72, 0x2000, v96
	;; [unrolled: 1-line block ×3, first 2 shown]
	ds_load_b64 v[52:53], v96 offset:13056
	v_fmac_f32_e32 v80, v20, v58
	v_fma_f32 v20, v20, v59, -v21
	s_wait_dscnt 0x2
	v_mul_f32_e32 v21, v23, v61
	v_mul_f32_e32 v23, v23, v60
	v_mul_f32_e32 v59, v17, v62
	s_wait_dscnt 0x1
	v_mul_f32_e32 v81, v19, v65
	ds_load_2addr_b64 v[68:71], v68 offset0:48 offset1:184
	ds_load_2addr_b64 v[72:75], v72 offset0:64 offset1:200
	;; [unrolled: 1-line block ×3, first 2 shown]
	v_dual_mul_f32 v58, v17, v63 :: v_dual_mul_f32 v19, v19, v64
	v_mul_f32_e32 v17, v9, v67
	v_mul_f32_e32 v9, v9, v66
	v_fmac_f32_e32 v21, v22, v60
	v_fma_f32 v22, v22, v61, -v23
	v_fmac_f32_e32 v58, v16, v62
	v_fma_f32 v23, v16, v63, -v59
	v_fma_f32 v19, v18, v65, -v19
	global_wb scope:SCOPE_SE
	s_wait_dscnt 0x0
	s_barrier_signal -1
	s_barrier_wait -1
	global_inv scope:SCOPE_SE
	v_dual_mul_f32 v16, v11, v69 :: v_dual_fmac_f32 v81, v18, v64
	v_fmac_f32_e32 v17, v8, v66
	v_fma_f32 v18, v8, v67, -v9
	v_mul_f32_e32 v8, v11, v68
	s_delay_alu instid0(VALU_DEP_4) | instskip(SKIP_2) | instid1(VALU_DEP_4)
	v_fmac_f32_e32 v16, v10, v68
	v_dual_add_f32 v9, v56, v80 :: v_dual_mul_f32 v60, v13, v75
	v_mul_f32_e32 v11, v1, v71
	v_fma_f32 v10, v10, v69, -v8
	v_mul_f32_e32 v1, v1, v70
	s_delay_alu instid0(VALU_DEP_4)
	v_add_f32_e32 v8, v9, v21
	v_add_f32_e32 v59, v57, v20
	v_fmac_f32_e32 v11, v0, v70
	v_fmac_f32_e32 v60, v12, v74
	v_fma_f32 v0, v0, v71, -v1
	v_add_f32_e32 v8, v8, v58
	v_add_f32_e32 v9, v59, v22
	v_mul_f32_e32 v59, v3, v73
	v_mul_f32_e32 v1, v3, v72
	s_delay_alu instid0(VALU_DEP_4) | instskip(NEXT) | instid1(VALU_DEP_3)
	v_add_f32_e32 v3, v8, v81
	v_fmac_f32_e32 v59, v2, v72
	s_delay_alu instid0(VALU_DEP_3) | instskip(SKIP_1) | instid1(VALU_DEP_1)
	v_fma_f32 v1, v2, v73, -v1
	v_dual_mul_f32 v2, v13, v74 :: v_dual_mul_f32 v13, v15, v77
	v_fma_f32 v2, v12, v75, -v2
	v_mul_f32_e32 v12, v5, v79
	v_add_f32_e32 v9, v9, v23
	s_delay_alu instid0(VALU_DEP_2) | instskip(NEXT) | instid1(VALU_DEP_2)
	v_dual_fmac_f32 v13, v14, v76 :: v_dual_fmac_f32 v12, v4, v78
	v_add_f32_e32 v8, v9, v19
	s_delay_alu instid0(VALU_DEP_1) | instskip(NEXT) | instid1(VALU_DEP_1)
	v_add_f32_e32 v8, v8, v18
	v_add_f32_e32 v8, v8, v10
	s_delay_alu instid0(VALU_DEP_1) | instskip(NEXT) | instid1(VALU_DEP_1)
	v_add_f32_e32 v8, v8, v0
	v_dual_mul_f32 v9, v15, v76 :: v_dual_add_f32 v8, v8, v1
	s_delay_alu instid0(VALU_DEP_1) | instskip(SKIP_1) | instid1(VALU_DEP_3)
	v_fma_f32 v14, v14, v77, -v9
	v_mul_f32_e32 v9, v7, v52
	v_dual_mul_f32 v7, v7, v53 :: v_dual_add_f32 v8, v8, v2
	s_delay_alu instid0(VALU_DEP_2) | instskip(NEXT) | instid1(VALU_DEP_1)
	v_fma_f32 v9, v6, v53, -v9
	v_dual_fmac_f32 v7, v6, v52 :: v_dual_sub_f32 v6, v20, v9
	v_add_f32_e32 v20, v20, v9
	s_delay_alu instid0(VALU_DEP_2) | instskip(SKIP_1) | instid1(VALU_DEP_3)
	v_dual_mul_f32 v52, 0xbeedf032, v6 :: v_dual_add_f32 v3, v3, v17
	v_mul_f32_e32 v65, 0xbf7e222b, v6
	v_mul_f32_e32 v71, 0xbeb58ec6, v20
	v_add_f32_e32 v15, v80, v7
	v_mul_f32_e32 v67, 0x3df6dbef, v20
	v_add_f32_e32 v3, v3, v16
	v_mul_f32_e32 v74, 0xbf3f9e67, v20
	v_mul_f32_e32 v62, 0x3f62ad3f, v20
	v_fmamk_f32 v66, v15, 0x3df6dbef, v65
	v_mul_f32_e32 v68, 0xbf6f5d39, v6
	s_delay_alu instid0(VALU_DEP_2) | instskip(SKIP_3) | instid1(VALU_DEP_3)
	v_add_f32_e32 v66, v56, v66
	v_mul_f32_e32 v5, v5, v78
	v_sub_f32_e32 v53, v80, v7
	v_dual_add_f32 v3, v3, v11 :: v_dual_add_f32 v80, v21, v12
	v_fma_f32 v4, v4, v79, -v5
	s_delay_alu instid0(VALU_DEP_3) | instskip(SKIP_3) | instid1(VALU_DEP_4)
	v_dual_fmamk_f32 v72, v53, 0x3f6f5d39, v71 :: v_dual_add_f32 v5, v8, v14
	v_fmamk_f32 v70, v15, 0xbeb58ec6, v68
	v_fmamk_f32 v61, v15, 0x3f62ad3f, v52
	v_fma_f32 v52, 0x3f62ad3f, v15, -v52
	v_add_f32_e32 v72, v57, v72
	s_delay_alu instid0(VALU_DEP_4) | instskip(SKIP_1) | instid1(VALU_DEP_4)
	v_dual_add_f32 v5, v5, v4 :: v_dual_add_f32 v70, v56, v70
	v_fmamk_f32 v76, v53, 0x3f29c268, v74
	v_add_f32_e32 v52, v56, v52
	s_delay_alu instid0(VALU_DEP_3) | instskip(SKIP_3) | instid1(VALU_DEP_3)
	v_dual_sub_f32 v78, v22, v4 :: v_dual_add_f32 v9, v5, v9
	v_fmamk_f32 v5, v53, 0x3eedf032, v62
	v_dual_fmac_f32 v62, 0xbeedf032, v53 :: v_dual_add_f32 v3, v3, v59
	v_add_f32_e32 v76, v57, v76
	v_dual_add_f32 v4, v22, v4 :: v_dual_add_f32 v5, v57, v5
	v_fma_f32 v65, 0x3df6dbef, v15, -v65
	s_delay_alu instid0(VALU_DEP_4) | instskip(SKIP_3) | instid1(VALU_DEP_4)
	v_add_f32_e32 v3, v3, v60
	v_fma_f32 v68, 0xbeb58ec6, v15, -v68
	v_fmac_f32_e32 v74, 0xbf29c268, v53
	v_add_f32_e32 v62, v57, v62
	v_dual_mul_f32 v82, 0xbf52af12, v78 :: v_dual_add_f32 v3, v3, v13
	s_delay_alu instid0(VALU_DEP_4) | instskip(NEXT) | instid1(VALU_DEP_2)
	v_add_f32_e32 v68, v56, v68
	v_dual_add_f32 v74, v57, v74 :: v_dual_add_f32 v3, v3, v12
	v_sub_f32_e32 v12, v21, v12
	s_delay_alu instid0(VALU_DEP_2) | instskip(SKIP_4) | instid1(VALU_DEP_3)
	v_dual_mul_f32 v21, 0x3f116cb1, v4 :: v_dual_add_f32 v8, v3, v7
	v_add_f32_e32 v3, v56, v61
	v_mul_f32_e32 v7, 0xbf52af12, v6
	v_mul_f32_e32 v61, 0x3f116cb1, v20
	;; [unrolled: 1-line block ×3, first 2 shown]
	v_fmamk_f32 v63, v15, 0x3f116cb1, v7
	s_delay_alu instid0(VALU_DEP_3) | instskip(SKIP_1) | instid1(VALU_DEP_4)
	v_fmamk_f32 v64, v53, 0x3f52af12, v61
	v_fma_f32 v7, 0x3f116cb1, v15, -v7
	v_fmamk_f32 v79, v53, 0x3e750f2a, v20
	s_delay_alu instid0(VALU_DEP_4) | instskip(NEXT) | instid1(VALU_DEP_3)
	v_dual_fmac_f32 v20, 0xbe750f2a, v53 :: v_dual_add_f32 v63, v56, v63
	v_dual_add_f32 v64, v57, v64 :: v_dual_add_f32 v7, v56, v7
	v_mul_f32_e32 v73, 0xbf29c268, v6
	v_mul_f32_e32 v6, 0xbe750f2a, v6
	v_fmac_f32_e32 v61, 0xbf52af12, v53
	v_dual_add_f32 v65, v56, v65 :: v_dual_add_f32 v20, v57, v20
	s_delay_alu instid0(VALU_DEP_4)
	v_fmamk_f32 v75, v15, 0xbf3f9e67, v73
	v_fma_f32 v73, 0xbf3f9e67, v15, -v73
	v_fmamk_f32 v77, v15, 0xbf788fa5, v6
	v_fma_f32 v6, 0xbf788fa5, v15, -v6
	v_add_f32_e32 v61, v57, v61
	v_add_f32_e32 v75, v56, v75
	;; [unrolled: 1-line block ×4, first 2 shown]
	v_fmamk_f32 v15, v80, 0x3f116cb1, v82
	v_add_f32_e32 v6, v56, v6
	v_fma_f32 v56, 0x3f116cb1, v80, -v82
	v_fmamk_f32 v69, v53, 0x3f7e222b, v67
	v_dual_fmac_f32 v67, 0xbf7e222b, v53 :: v_dual_add_f32 v22, v57, v79
	v_add_f32_e32 v3, v15, v3
	v_fmamk_f32 v15, v12, 0x3f52af12, v21
	v_fmac_f32_e32 v21, 0xbf52af12, v12
	s_delay_alu instid0(VALU_DEP_4) | instskip(SKIP_2) | instid1(VALU_DEP_4)
	v_dual_add_f32 v67, v57, v67 :: v_dual_add_f32 v52, v56, v52
	v_add_f32_e32 v69, v57, v69
	v_mul_f32_e32 v79, 0xbf3f9e67, v4
	v_add_f32_e32 v21, v21, v62
	v_mul_f32_e32 v62, 0xbe750f2a, v78
	v_fmac_f32_e32 v71, 0xbf6f5d39, v53
	v_mul_f32_e32 v53, 0xbf6f5d39, v78
	v_add_f32_e32 v5, v15, v5
	s_delay_alu instid0(VALU_DEP_3) | instskip(SKIP_1) | instid1(VALU_DEP_4)
	v_add_f32_e32 v71, v57, v71
	v_mul_f32_e32 v57, 0xbeb58ec6, v4
	v_fmamk_f32 v15, v80, 0xbeb58ec6, v53
	v_fma_f32 v53, 0xbeb58ec6, v80, -v53
	s_delay_alu instid0(VALU_DEP_2) | instskip(SKIP_3) | instid1(VALU_DEP_4)
	v_dual_fmamk_f32 v56, v12, 0x3f6f5d39, v57 :: v_dual_add_f32 v15, v15, v63
	v_fmac_f32_e32 v57, 0xbf6f5d39, v12
	v_fmamk_f32 v63, v80, 0xbf788fa5, v62
	v_fma_f32 v62, 0xbf788fa5, v80, -v62
	v_add_f32_e32 v56, v56, v64
	v_dual_mul_f32 v64, 0xbf788fa5, v4 :: v_dual_add_f32 v7, v53, v7
	v_add_f32_e32 v53, v57, v61
	v_mul_f32_e32 v57, 0x3f29c268, v78
	v_dual_add_f32 v61, v63, v66 :: v_dual_add_f32 v62, v62, v65
	s_delay_alu instid0(VALU_DEP_4) | instskip(SKIP_1) | instid1(VALU_DEP_4)
	v_fmamk_f32 v63, v12, 0x3e750f2a, v64
	v_fmac_f32_e32 v64, 0xbe750f2a, v12
	v_fmamk_f32 v66, v80, 0xbf3f9e67, v57
	v_fma_f32 v57, 0xbf3f9e67, v80, -v57
	s_delay_alu instid0(VALU_DEP_3) | instskip(NEXT) | instid1(VALU_DEP_3)
	v_dual_add_f32 v64, v64, v67 :: v_dual_mul_f32 v67, 0x3f7e222b, v78
	v_dual_add_f32 v65, v66, v70 :: v_dual_fmamk_f32 v66, v12, 0xbf29c268, v79
	s_delay_alu instid0(VALU_DEP_2) | instskip(SKIP_1) | instid1(VALU_DEP_3)
	v_fmamk_f32 v70, v80, 0x3df6dbef, v67
	v_fma_f32 v67, 0x3df6dbef, v80, -v67
	v_add_f32_e32 v66, v66, v72
	v_mul_f32_e32 v72, 0x3eedf032, v78
	s_delay_alu instid0(VALU_DEP_3)
	v_dual_add_f32 v70, v70, v75 :: v_dual_add_f32 v67, v67, v73
	v_sub_f32_e32 v73, v23, v14
	v_add_f32_e32 v14, v23, v14
	v_add_f32_e32 v63, v63, v69
	v_mul_f32_e32 v69, 0x3df6dbef, v4
	v_fmamk_f32 v75, v80, 0x3f62ad3f, v72
	v_fma_f32 v23, 0x3f62ad3f, v80, -v72
	v_dual_mul_f32 v72, 0xbf788fa5, v14 :: v_dual_add_f32 v57, v57, v68
	s_delay_alu instid0(VALU_DEP_4) | instskip(SKIP_3) | instid1(VALU_DEP_3)
	v_fmamk_f32 v68, v12, 0xbf7e222b, v69
	v_fmac_f32_e32 v69, 0x3f7e222b, v12
	v_mul_f32_e32 v4, 0x3f62ad3f, v4
	v_dual_fmac_f32 v79, 0x3f29c268, v12 :: v_dual_add_f32 v6, v23, v6
	v_dual_add_f32 v68, v68, v76 :: v_dual_add_f32 v69, v69, v74
	v_add_f32_e32 v74, v75, v77
	v_add_f32_e32 v76, v58, v13
	v_mul_f32_e32 v77, 0xbf7e222b, v73
	v_fmamk_f32 v75, v12, 0xbeedf032, v4
	v_fmac_f32_e32 v4, 0x3eedf032, v12
	v_sub_f32_e32 v12, v58, v13
	s_delay_alu instid0(VALU_DEP_4) | instskip(NEXT) | instid1(VALU_DEP_4)
	v_dual_mul_f32 v58, 0x3df6dbef, v14 :: v_dual_fmamk_f32 v13, v76, 0x3df6dbef, v77
	v_add_f32_e32 v22, v75, v22
	s_delay_alu instid0(VALU_DEP_4)
	v_add_f32_e32 v4, v4, v20
	v_mul_f32_e32 v20, 0xbe750f2a, v73
	v_fma_f32 v23, 0x3df6dbef, v76, -v77
	v_add_f32_e32 v3, v13, v3
	v_fmamk_f32 v13, v12, 0x3f7e222b, v58
	v_fmac_f32_e32 v58, 0xbf7e222b, v12
	v_mul_f32_e32 v75, 0x3f62ad3f, v14
	v_dual_add_f32 v23, v23, v52 :: v_dual_fmamk_f32 v52, v12, 0x3e750f2a, v72
	s_delay_alu instid0(VALU_DEP_4) | instskip(SKIP_3) | instid1(VALU_DEP_3)
	v_add_f32_e32 v5, v13, v5
	v_fmamk_f32 v13, v76, 0xbf788fa5, v20
	v_add_f32_e32 v21, v58, v21
	v_mul_f32_e32 v58, 0x3f6f5d39, v73
	v_dual_fmac_f32 v72, 0xbe750f2a, v12 :: v_dual_add_f32 v13, v13, v15
	v_fma_f32 v15, 0xbf788fa5, v76, -v20
	v_add_f32_e32 v20, v52, v56
	s_delay_alu instid0(VALU_DEP_4)
	v_fmamk_f32 v52, v76, 0xbeb58ec6, v58
	v_mul_f32_e32 v56, 0xbeb58ec6, v14
	v_fma_f32 v58, 0xbeb58ec6, v76, -v58
	v_add_f32_e32 v7, v15, v7
	v_add_f32_e32 v15, v72, v53
	;; [unrolled: 1-line block ×3, first 2 shown]
	v_fmamk_f32 v61, v12, 0xbf6f5d39, v56
	v_fmac_f32_e32 v56, 0x3f6f5d39, v12
	v_dual_add_f32 v58, v58, v62 :: v_dual_mul_f32 v53, 0x3eedf032, v73
	s_delay_alu instid0(VALU_DEP_2) | instskip(SKIP_2) | instid1(VALU_DEP_4)
	v_dual_add_f32 v61, v61, v63 :: v_dual_add_f32 v56, v56, v64
	v_fmamk_f32 v63, v12, 0xbeedf032, v75
	v_mul_f32_e32 v64, 0xbf52af12, v73
	v_fmamk_f32 v72, v76, 0x3f62ad3f, v53
	v_fma_f32 v53, 0x3f62ad3f, v76, -v53
	s_delay_alu instid0(VALU_DEP_3) | instskip(SKIP_1) | instid1(VALU_DEP_4)
	v_dual_add_f32 v63, v63, v66 :: v_dual_fmamk_f32 v66, v76, 0x3f116cb1, v64
	v_fma_f32 v64, 0x3f116cb1, v76, -v64
	v_dual_add_f32 v62, v72, v65 :: v_dual_mul_f32 v65, 0x3f116cb1, v14
	v_mul_f32_e32 v14, 0xbf3f9e67, v14
	v_mul_f32_e32 v72, 0xbf29c268, v73
	s_delay_alu instid0(VALU_DEP_4)
	v_add_f32_e32 v64, v64, v67
	v_add_f32_e32 v71, v79, v71
	v_sub_f32_e32 v67, v19, v2
	v_dual_add_f32 v2, v19, v2 :: v_dual_add_f32 v53, v53, v57
	v_fmamk_f32 v57, v12, 0x3f52af12, v65
	v_fmac_f32_e32 v65, 0xbf52af12, v12
	v_fmac_f32_e32 v75, 0x3eedf032, v12
	v_fma_f32 v19, 0xbf3f9e67, v76, -v72
	v_add_f32_e32 v66, v66, v70
	v_add_f32_e32 v70, v81, v60
	;; [unrolled: 1-line block ×3, first 2 shown]
	v_fmamk_f32 v69, v12, 0x3f29c268, v14
	v_fmac_f32_e32 v14, 0xbf29c268, v12
	v_sub_f32_e32 v12, v81, v60
	v_add_f32_e32 v6, v19, v6
	s_delay_alu instid0(VALU_DEP_4) | instskip(SKIP_4) | instid1(VALU_DEP_3)
	v_add_f32_e32 v22, v69, v22
	v_mul_f32_e32 v69, 0xbf3f9e67, v2
	v_dual_add_f32 v57, v57, v68 :: v_dual_fmamk_f32 v68, v76, 0xbf3f9e67, v72
	v_mul_f32_e32 v72, 0xbeb58ec6, v2
	v_add_f32_e32 v4, v14, v4
	v_add_f32_e32 v68, v68, v74
	s_delay_alu instid0(VALU_DEP_3) | instskip(SKIP_2) | instid1(VALU_DEP_3)
	v_fmamk_f32 v14, v12, 0x3f6f5d39, v72
	v_dual_fmac_f32 v72, 0xbf6f5d39, v12 :: v_dual_mul_f32 v73, 0xbf6f5d39, v67
	v_mul_f32_e32 v19, 0x3f29c268, v67
	v_add_f32_e32 v5, v14, v5
	s_delay_alu instid0(VALU_DEP_3) | instskip(NEXT) | instid1(VALU_DEP_3)
	v_dual_add_f32 v21, v72, v21 :: v_dual_fmamk_f32 v60, v70, 0xbeb58ec6, v73
	v_fmamk_f32 v14, v70, 0xbf3f9e67, v19
	v_mul_f32_e32 v72, 0x3eedf032, v67
	v_add_f32_e32 v71, v75, v71
	s_delay_alu instid0(VALU_DEP_4) | instskip(SKIP_4) | instid1(VALU_DEP_4)
	v_add_f32_e32 v3, v60, v3
	v_fma_f32 v60, 0xbeb58ec6, v70, -v73
	v_add_f32_e32 v13, v14, v13
	v_fma_f32 v14, 0xbf3f9e67, v70, -v19
	v_mul_f32_e32 v73, 0x3df6dbef, v2
	v_add_f32_e32 v23, v60, v23
	v_fmamk_f32 v60, v12, 0xbf29c268, v69
	v_fmac_f32_e32 v69, 0x3f29c268, v12
	v_add_f32_e32 v7, v14, v7
	s_delay_alu instid0(VALU_DEP_3) | instskip(SKIP_1) | instid1(VALU_DEP_4)
	v_dual_add_f32 v19, v60, v20 :: v_dual_fmamk_f32 v20, v70, 0x3f62ad3f, v72
	v_mul_f32_e32 v60, 0x3f62ad3f, v2
	v_add_f32_e32 v14, v69, v15
	v_mul_f32_e32 v15, 0xbf7e222b, v67
	v_fma_f32 v69, 0x3f62ad3f, v70, -v72
	v_add_f32_e32 v20, v20, v52
	v_fmamk_f32 v52, v12, 0xbeedf032, v60
	v_fmac_f32_e32 v60, 0x3eedf032, v12
	v_fmamk_f32 v72, v70, 0x3df6dbef, v15
	v_add_f32_e32 v58, v69, v58
	s_delay_alu instid0(VALU_DEP_4) | instskip(NEXT) | instid1(VALU_DEP_4)
	v_dual_mul_f32 v69, 0xbf788fa5, v2 :: v_dual_add_f32 v52, v52, v61
	v_add_f32_e32 v56, v60, v56
	s_delay_alu instid0(VALU_DEP_4) | instskip(SKIP_3) | instid1(VALU_DEP_3)
	v_add_f32_e32 v60, v72, v62
	v_fmamk_f32 v61, v12, 0x3f7e222b, v73
	v_mul_f32_e32 v62, 0x3e750f2a, v67
	v_mul_f32_e32 v67, 0x3f52af12, v67
	v_dual_mul_f32 v2, 0x3f116cb1, v2 :: v_dual_add_f32 v61, v61, v63
	s_delay_alu instid0(VALU_DEP_3) | instskip(SKIP_1) | instid1(VALU_DEP_1)
	v_fmamk_f32 v63, v70, 0xbf788fa5, v62
	v_fma_f32 v62, 0xbf788fa5, v70, -v62
	v_add_f32_e32 v62, v62, v64
	v_sub_f32_e32 v64, v18, v1
	v_add_f32_e32 v1, v18, v1
	v_fma_f32 v18, 0x3f116cb1, v70, -v67
	v_dual_add_f32 v63, v63, v66 :: v_dual_fmamk_f32 v66, v12, 0xbf52af12, v2
	v_fmac_f32_e32 v2, 0x3f52af12, v12
	s_delay_alu instid0(VALU_DEP_3) | instskip(SKIP_1) | instid1(VALU_DEP_4)
	v_add_f32_e32 v6, v18, v6
	v_fma_f32 v15, 0x3df6dbef, v70, -v15
	v_add_f32_e32 v22, v66, v22
	v_mul_f32_e32 v66, 0x3df6dbef, v1
	v_add_f32_e32 v2, v2, v4
	v_fmac_f32_e32 v73, 0xbf7e222b, v12
	v_add_f32_e32 v15, v15, v53
	v_fmamk_f32 v53, v12, 0xbe750f2a, v69
	v_dual_fmac_f32 v69, 0x3e750f2a, v12 :: v_dual_sub_f32 v12, v17, v59
	s_delay_alu instid0(VALU_DEP_2) | instskip(SKIP_1) | instid1(VALU_DEP_3)
	v_add_f32_e32 v53, v53, v57
	v_fmamk_f32 v57, v70, 0x3f116cb1, v67
	v_add_f32_e32 v65, v69, v65
	v_mul_f32_e32 v69, 0xbf29c268, v64
	v_mul_f32_e32 v67, 0xbf788fa5, v1
	s_delay_alu instid0(VALU_DEP_4) | instskip(SKIP_1) | instid1(VALU_DEP_1)
	v_add_f32_e32 v57, v57, v68
	v_dual_add_f32 v68, v17, v59 :: v_dual_mul_f32 v59, 0xbf3f9e67, v1
	v_fmamk_f32 v17, v68, 0xbf3f9e67, v69
	s_delay_alu instid0(VALU_DEP_2)
	v_fmamk_f32 v4, v12, 0x3f29c268, v59
	v_fma_f32 v18, 0xbf3f9e67, v68, -v69
	v_fmac_f32_e32 v59, 0xbf29c268, v12
	v_add_f32_e32 v69, v10, v0
	v_add_f32_e32 v3, v17, v3
	v_dual_mul_f32 v17, 0x3f7e222b, v64 :: v_dual_add_f32 v4, v4, v5
	s_delay_alu instid0(VALU_DEP_4) | instskip(SKIP_1) | instid1(VALU_DEP_3)
	v_dual_add_f32 v18, v18, v23 :: v_dual_add_f32 v21, v59, v21
	v_fmamk_f32 v23, v12, 0xbf7e222b, v66
	v_fmamk_f32 v5, v68, 0x3df6dbef, v17
	s_delay_alu instid0(VALU_DEP_1) | instskip(SKIP_2) | instid1(VALU_DEP_3)
	v_dual_fmac_f32 v66, 0x3f7e222b, v12 :: v_dual_add_f32 v5, v5, v13
	v_mul_f32_e32 v59, 0xbf52af12, v64
	v_fma_f32 v13, 0x3df6dbef, v68, -v17
	v_dual_add_f32 v17, v23, v19 :: v_dual_add_f32 v14, v66, v14
	s_delay_alu instid0(VALU_DEP_3) | instskip(NEXT) | instid1(VALU_DEP_3)
	v_fmamk_f32 v19, v68, 0x3f116cb1, v59
	v_add_f32_e32 v7, v13, v7
	v_mul_f32_e32 v23, 0x3f116cb1, v1
	v_mul_f32_e32 v13, 0x3e750f2a, v64
	v_add_f32_e32 v71, v73, v71
	v_add_f32_e32 v19, v19, v20
	v_fma_f32 v59, 0x3f116cb1, v68, -v59
	v_fmamk_f32 v20, v12, 0x3f52af12, v23
	v_fmac_f32_e32 v23, 0xbf52af12, v12
	v_fmamk_f32 v66, v68, 0xbf788fa5, v13
	v_fma_f32 v13, 0xbf788fa5, v68, -v13
	v_add_f32_e32 v58, v59, v58
	v_add_f32_e32 v20, v20, v52
	;; [unrolled: 1-line block ×4, first 2 shown]
	v_fmamk_f32 v52, v12, 0xbe750f2a, v67
	v_dual_add_f32 v66, v13, v15 :: v_dual_mul_f32 v59, 0x3eedf032, v64
	v_mul_f32_e32 v15, 0xbf6f5d39, v64
	s_delay_alu instid0(VALU_DEP_3) | instskip(NEXT) | instid1(VALU_DEP_3)
	v_dual_sub_f32 v64, v10, v0 :: v_dual_add_f32 v61, v52, v61
	v_fmamk_f32 v52, v68, 0x3f62ad3f, v59
	v_mul_f32_e32 v60, 0x3f62ad3f, v1
	v_mul_f32_e32 v1, 0xbeb58ec6, v1
	v_fma_f32 v0, 0xbeb58ec6, v68, -v15
	s_delay_alu instid0(VALU_DEP_4) | instskip(SKIP_1) | instid1(VALU_DEP_3)
	v_add_f32_e32 v63, v52, v63
	v_fma_f32 v52, 0x3f62ad3f, v68, -v59
	v_add_f32_e32 v70, v0, v6
	v_mul_f32_e32 v6, 0x3f52af12, v64
	s_delay_alu instid0(VALU_DEP_3) | instskip(SKIP_2) | instid1(VALU_DEP_3)
	v_dual_fmac_f32 v67, 0x3e750f2a, v12 :: v_dual_add_f32 v62, v52, v62
	v_fmamk_f32 v13, v12, 0xbeedf032, v60
	v_fmac_f32_e32 v60, 0x3eedf032, v12
	v_dual_mul_f32 v52, 0xbe750f2a, v64 :: v_dual_add_f32 v67, v67, v71
	s_delay_alu instid0(VALU_DEP_3) | instskip(SKIP_1) | instid1(VALU_DEP_4)
	v_add_f32_e32 v59, v13, v53
	v_fmamk_f32 v13, v68, 0xbeb58ec6, v15
	v_add_f32_e32 v60, v60, v65
	v_sub_f32_e32 v68, v16, v11
	v_add_f32_e32 v65, v16, v11
	s_delay_alu instid0(VALU_DEP_4) | instskip(SKIP_4) | instid1(VALU_DEP_4)
	v_add_f32_e32 v57, v13, v57
	v_fmamk_f32 v13, v12, 0x3f6f5d39, v1
	v_fmac_f32_e32 v1, 0xbf6f5d39, v12
	v_mul_f32_e32 v12, 0xbf788fa5, v69
	v_fmamk_f32 v10, v65, 0xbf788fa5, v52
	v_add_f32_e32 v22, v13, v22
	s_delay_alu instid0(VALU_DEP_3)
	v_dual_add_f32 v71, v1, v2 :: v_dual_fmamk_f32 v0, v68, 0x3e750f2a, v12
	v_mul_f32_e32 v1, 0x3eedf032, v64
	v_fmac_f32_e32 v12, 0xbe750f2a, v68
	v_add_f32_e32 v10, v10, v3
	v_fma_f32 v2, 0xbf788fa5, v65, -v52
	v_mul_f32_e32 v3, 0x3f62ad3f, v69
	s_delay_alu instid0(VALU_DEP_4)
	v_add_f32_e32 v53, v12, v21
	v_mul_f32_e32 v21, 0x3f7e222b, v64
	v_dual_add_f32 v11, v0, v4 :: v_dual_fmamk_f32 v0, v65, 0x3f62ad3f, v1
	v_add_f32_e32 v52, v2, v18
	v_fmamk_f32 v2, v68, 0xbeedf032, v3
	v_mul_f32_e32 v4, 0xbf29c268, v64
	s_delay_alu instid0(VALU_DEP_4) | instskip(SKIP_4) | instid1(VALU_DEP_4)
	v_dual_fmac_f32 v3, 0x3eedf032, v68 :: v_dual_add_f32 v12, v0, v5
	v_fma_f32 v0, 0x3f62ad3f, v65, -v1
	v_mul_f32_e32 v5, 0xbf3f9e67, v69
	v_add_f32_e32 v13, v2, v17
	v_fmamk_f32 v1, v65, 0xbf3f9e67, v4
	v_dual_add_f32 v3, v3, v14 :: v_dual_add_f32 v2, v0, v7
	s_delay_alu instid0(VALU_DEP_4) | instskip(NEXT) | instid1(VALU_DEP_3)
	v_fmamk_f32 v0, v68, 0x3f29c268, v5
	v_dual_fmac_f32 v5, 0xbf29c268, v68 :: v_dual_add_f32 v14, v1, v19
	v_mul_f32_e32 v7, 0x3f116cb1, v69
	s_delay_alu instid0(VALU_DEP_3) | instskip(NEXT) | instid1(VALU_DEP_1)
	v_dual_add_f32 v15, v0, v20 :: v_dual_mul_f32 v20, 0xbeb58ec6, v69
	v_fmamk_f32 v19, v68, 0x3f6f5d39, v20
	v_fmac_f32_e32 v20, 0xbf6f5d39, v68
	v_fma_f32 v1, 0xbf3f9e67, v65, -v4
	v_fmamk_f32 v4, v65, 0x3f116cb1, v6
	v_fma_f32 v6, 0x3f116cb1, v65, -v6
	v_add_f32_e32 v19, v19, v59
	v_fma_f32 v59, 0x3df6dbef, v65, -v21
	v_add_f32_e32 v0, v1, v58
	v_dual_add_f32 v1, v5, v23 :: v_dual_add_f32 v16, v4, v56
	v_fmamk_f32 v4, v68, 0xbf52af12, v7
	v_mul_f32_e32 v5, 0xbf6f5d39, v64
	v_fmamk_f32 v56, v65, 0x3df6dbef, v21
	v_dual_fmac_f32 v7, 0x3f52af12, v68 :: v_dual_add_f32 v6, v6, v66
	s_delay_alu instid0(VALU_DEP_3) | instskip(SKIP_2) | instid1(VALU_DEP_4)
	v_dual_add_f32 v17, v4, v61 :: v_dual_fmamk_f32 v4, v65, 0xbeb58ec6, v5
	v_mul_f32_e32 v23, 0x3df6dbef, v69
	v_fma_f32 v5, 0xbeb58ec6, v65, -v5
	v_add_f32_e32 v7, v7, v67
	s_delay_alu instid0(VALU_DEP_4) | instskip(NEXT) | instid1(VALU_DEP_4)
	v_add_f32_e32 v18, v4, v63
	v_fmamk_f32 v58, v68, 0xbf7e222b, v23
	s_delay_alu instid0(VALU_DEP_4) | instskip(SKIP_2) | instid1(VALU_DEP_4)
	v_dual_fmac_f32 v23, 0x3f7e222b, v68 :: v_dual_add_f32 v4, v5, v62
	v_add_f32_e32 v5, v20, v60
	v_add_f32_e32 v20, v56, v57
	v_dual_add_f32 v21, v58, v22 :: v_dual_add_nc_u32 v56, 0x2900, v96
	v_add_nc_u32_e32 v58, 0xd00, v96
	v_dual_add_f32 v22, v59, v70 :: v_dual_add_nc_u32 v57, 0x1b00, v96
	v_add_f32_e32 v23, v23, v71
	ds_store_2addr_b64 v98, v[8:9], v[10:11] offset1:17
	ds_store_2addr_b64 v98, v[12:13], v[14:15] offset0:34 offset1:51
	ds_store_2addr_b64 v98, v[16:17], v[18:19] offset0:68 offset1:85
	;; [unrolled: 1-line block ×5, first 2 shown]
	ds_store_b64 v98, v[52:53] offset:1632
	global_wb scope:SCOPE_SE
	s_wait_dscnt 0x0
	s_barrier_signal -1
	s_barrier_wait -1
	global_inv scope:SCOPE_SE
	ds_load_2addr_b64 v[8:11], v96 offset1:221
	ds_load_2addr_b64 v[20:23], v58 offset0:26 offset1:247
	ds_load_2addr_b64 v[16:19], v57 offset0:20 offset1:241
	;; [unrolled: 1-line block ×3, first 2 shown]
	s_and_saveexec_b32 s1, s0
	s_cbranch_execz .LBB0_19
; %bb.18:
	v_add_nc_u32_e32 v0, 0x400, v96
	v_add_nc_u32_e32 v1, 0x1200, v96
	;; [unrolled: 1-line block ×4, first 2 shown]
	ds_load_2addr_b64 v[4:7], v0 offset0:8 offset1:229
	ds_load_2addr_b64 v[0:3], v1 offset0:2 offset1:223
	;; [unrolled: 1-line block ×4, first 2 shown]
.LBB0_19:
	s_wait_alu 0xfffe
	s_or_b32 exec_lo, exec_lo, s1
	s_wait_dscnt 0x2
	v_dual_mul_f32 v59, v45, v11 :: v_dual_mul_f32 v60, v47, v21
	v_mul_f32_e32 v45, v45, v10
	v_mul_f32_e32 v47, v47, v20
	;; [unrolled: 1-line block ×3, first 2 shown]
	s_delay_alu instid0(VALU_DEP_4) | instskip(NEXT) | instid1(VALU_DEP_4)
	v_dual_fmac_f32 v59, v44, v10 :: v_dual_fmac_f32 v60, v46, v20
	v_fma_f32 v10, v44, v11, -v45
	v_mul_f32_e32 v20, v41, v22
	v_fma_f32 v11, v46, v21, -v47
	v_fmac_f32_e32 v61, v40, v22
	s_wait_dscnt 0x1
	v_mul_f32_e32 v21, v43, v17
	v_mul_f32_e32 v22, v43, v16
	v_fma_f32 v20, v40, v23, -v20
	s_delay_alu instid0(VALU_DEP_3) | instskip(NEXT) | instid1(VALU_DEP_3)
	v_fmac_f32_e32 v21, v42, v16
	v_fma_f32 v16, v42, v17, -v22
	s_wait_dscnt 0x0
	v_mul_f32_e32 v17, v39, v13
	v_mul_f32_e32 v41, v37, v19
	;; [unrolled: 1-line block ×3, first 2 shown]
	s_delay_alu instid0(VALU_DEP_3) | instskip(SKIP_1) | instid1(VALU_DEP_4)
	v_fmac_f32_e32 v17, v38, v12
	v_mul_f32_e32 v23, v37, v18
	v_fmac_f32_e32 v41, v36, v18
	s_delay_alu instid0(VALU_DEP_4) | instskip(NEXT) | instid1(VALU_DEP_3)
	v_fmac_f32_e32 v22, v93, v14
	v_fma_f32 v18, v36, v19, -v23
	v_mul_f32_e32 v23, v94, v14
	s_delay_alu instid0(VALU_DEP_2) | instskip(NEXT) | instid1(VALU_DEP_2)
	v_sub_f32_e32 v18, v10, v18
	v_fma_f32 v14, v93, v15, -v23
	v_mul_f32_e32 v19, v39, v12
	v_dual_sub_f32 v15, v9, v16 :: v_dual_sub_f32 v16, v60, v17
	s_delay_alu instid0(VALU_DEP_4) | instskip(NEXT) | instid1(VALU_DEP_4)
	v_fma_f32 v10, v10, 2.0, -v18
	v_sub_f32_e32 v14, v20, v14
	s_delay_alu instid0(VALU_DEP_4) | instskip(NEXT) | instid1(VALU_DEP_4)
	v_fma_f32 v13, v38, v13, -v19
	v_fma_f32 v9, v9, 2.0, -v15
	v_fma_f32 v19, v60, 2.0, -v16
	s_delay_alu instid0(VALU_DEP_3) | instskip(NEXT) | instid1(VALU_DEP_1)
	v_sub_f32_e32 v13, v11, v13
	v_fma_f32 v11, v11, 2.0, -v13
	s_delay_alu instid0(VALU_DEP_1) | instskip(SKIP_2) | instid1(VALU_DEP_2)
	v_sub_f32_e32 v36, v9, v11
	v_sub_f32_e32 v22, v61, v22
	;; [unrolled: 1-line block ×3, first 2 shown]
	v_fma_f32 v11, v61, 2.0, -v22
	v_sub_f32_e32 v22, v18, v22
	v_sub_f32_e32 v38, v15, v16
	;; [unrolled: 1-line block ×3, first 2 shown]
	v_fma_f32 v8, v8, 2.0, -v12
	s_delay_alu instid0(VALU_DEP_3) | instskip(NEXT) | instid1(VALU_DEP_3)
	v_fma_f32 v42, v15, 2.0, -v38
	v_dual_add_f32 v40, v17, v14 :: v_dual_add_f32 v37, v12, v13
	v_fma_f32 v13, v20, 2.0, -v14
	v_fma_f32 v20, v9, 2.0, -v36
	v_fmamk_f32 v15, v22, 0x3f3504f3, v38
	s_delay_alu instid0(VALU_DEP_4) | instskip(SKIP_4) | instid1(VALU_DEP_3)
	v_fma_f32 v14, v17, 2.0, -v40
	v_fma_f32 v16, v12, 2.0, -v37
	v_sub_f32_e32 v41, v10, v13
	v_fma_f32 v13, v18, 2.0, -v22
	v_fmac_f32_e32 v15, 0xbf3504f3, v40
	v_fma_f32 v9, v10, 2.0, -v41
	v_fmamk_f32 v10, v14, 0xbf3504f3, v16
	v_fma_f32 v21, v59, 2.0, -v17
	s_delay_alu instid0(VALU_DEP_3) | instskip(NEXT) | instid1(VALU_DEP_2)
	v_sub_f32_e32 v9, v20, v9
	v_dual_fmac_f32 v10, 0x3f3504f3, v13 :: v_dual_sub_f32 v39, v21, v11
	v_fmamk_f32 v11, v13, 0xbf3504f3, v42
	s_delay_alu instid0(VALU_DEP_3) | instskip(NEXT) | instid1(VALU_DEP_3)
	v_fma_f32 v13, v20, 2.0, -v9
	v_fma_f32 v16, v16, 2.0, -v10
	s_delay_alu instid0(VALU_DEP_3) | instskip(SKIP_2) | instid1(VALU_DEP_3)
	v_fmac_f32_e32 v11, 0xbf3504f3, v14
	v_fmamk_f32 v14, v40, 0x3f3504f3, v37
	v_sub_f32_e32 v23, v8, v19
	v_fma_f32 v17, v42, 2.0, -v11
	s_delay_alu instid0(VALU_DEP_3) | instskip(NEXT) | instid1(VALU_DEP_3)
	v_fmac_f32_e32 v14, 0x3f3504f3, v22
	v_fma_f32 v19, v8, 2.0, -v23
	v_fma_f32 v8, v21, 2.0, -v39
	v_add_f32_e32 v18, v23, v41
	s_delay_alu instid0(VALU_DEP_4) | instskip(NEXT) | instid1(VALU_DEP_3)
	v_fma_f32 v22, v37, 2.0, -v14
	v_sub_f32_e32 v8, v19, v8
	s_delay_alu instid0(VALU_DEP_3) | instskip(SKIP_1) | instid1(VALU_DEP_3)
	v_fma_f32 v20, v23, 2.0, -v18
	v_fma_f32 v23, v38, 2.0, -v15
	;; [unrolled: 1-line block ×3, first 2 shown]
	v_sub_f32_e32 v19, v36, v39
	s_delay_alu instid0(VALU_DEP_1)
	v_fma_f32 v21, v36, 2.0, -v19
	ds_store_2addr_b64 v96, v[12:13], v[16:17] offset1:221
	ds_store_2addr_b64 v58, v[20:21], v[22:23] offset0:26 offset1:247
	ds_store_2addr_b64 v57, v[8:9], v[10:11] offset0:20 offset1:241
	;; [unrolled: 1-line block ×3, first 2 shown]
	s_and_saveexec_b32 s1, s0
	s_cbranch_execz .LBB0_21
; %bb.20:
	v_dual_mul_f32 v8, v27, v52 :: v_dual_mul_f32 v11, v29, v6
	v_dual_mul_f32 v12, v33, v54 :: v_dual_mul_f32 v17, v27, v53
	v_mul_f32_e32 v10, v35, v49
	v_mul_f32_e32 v9, v31, v1
	s_delay_alu instid0(VALU_DEP_4)
	v_fma_f32 v8, v26, v53, -v8
	v_fma_f32 v11, v28, v7, -v11
	;; [unrolled: 1-line block ×3, first 2 shown]
	v_dual_fmac_f32 v10, v34, v48 :: v_dual_mul_f32 v13, v25, v3
	v_mul_f32_e32 v16, v92, v50
	v_dual_mul_f32 v14, v92, v51 :: v_dual_mul_f32 v15, v25, v2
	v_fmac_f32_e32 v9, v30, v0
	s_delay_alu instid0(VALU_DEP_4) | instskip(SKIP_1) | instid1(VALU_DEP_4)
	v_dual_sub_f32 v8, v5, v8 :: v_dual_fmac_f32 v13, v24, v2
	v_sub_f32_e32 v12, v11, v12
	v_fmac_f32_e32 v14, v91, v50
	v_fma_f32 v15, v24, v3, -v15
	v_fma_f32 v2, v91, v51, -v16
	v_mul_f32_e32 v3, v29, v7
	v_dual_mul_f32 v7, v33, v55 :: v_dual_mul_f32 v0, v31, v0
	v_mul_f32_e32 v16, v35, v48
	v_dual_sub_f32 v10, v9, v10 :: v_dual_fmac_f32 v17, v26, v52
	s_delay_alu instid0(VALU_DEP_4) | instskip(NEXT) | instid1(VALU_DEP_4)
	v_fmac_f32_e32 v3, v28, v6
	v_fmac_f32_e32 v7, v32, v54
	v_fma_f32 v6, v30, v1, -v0
	v_fma_f32 v0, v34, v49, -v16
	v_sub_f32_e32 v14, v13, v14
	v_dual_sub_f32 v16, v15, v2 :: v_dual_sub_f32 v17, v4, v17
	s_delay_alu instid0(VALU_DEP_3) | instskip(NEXT) | instid1(VALU_DEP_3)
	v_dual_sub_f32 v7, v3, v7 :: v_dual_sub_f32 v2, v6, v0
	v_sub_f32_e32 v19, v12, v14
	v_sub_f32_e32 v18, v8, v10
	v_fma_f32 v22, v5, 2.0, -v8
	v_fma_f32 v4, v4, 2.0, -v17
	v_dual_add_f32 v21, v2, v17 :: v_dual_add_f32 v20, v16, v7
	s_delay_alu instid0(VALU_DEP_4)
	v_fmamk_f32 v1, v19, 0x3f3504f3, v18
	v_fma_f32 v2, v6, 2.0, -v2
	v_fma_f32 v6, v3, 2.0, -v7
	;; [unrolled: 1-line block ×4, first 2 shown]
	v_fmac_f32_e32 v1, 0xbf3504f3, v20
	v_fma_f32 v10, v11, 2.0, -v12
	v_fma_f32 v11, v15, 2.0, -v16
	v_sub_f32_e32 v14, v6, v3
	v_dual_fmamk_f32 v0, v20, 0x3f3504f3, v21 :: v_dual_sub_f32 v13, v22, v2
	v_fma_f32 v3, v18, 2.0, -v1
	v_fma_f32 v15, v8, 2.0, -v18
	;; [unrolled: 1-line block ×5, first 2 shown]
	v_dual_sub_f32 v11, v10, v11 :: v_dual_sub_f32 v18, v4, v9
	v_dual_fmac_f32 v0, 0x3f3504f3, v19 :: v_dual_sub_f32 v5, v13, v14
	v_fmamk_f32 v9, v12, 0xbf3504f3, v15
	v_fma_f32 v19, v22, 2.0, -v13
	s_delay_alu instid0(VALU_DEP_4) | instskip(SKIP_3) | instid1(VALU_DEP_4)
	v_fma_f32 v10, v10, 2.0, -v11
	v_fmamk_f32 v8, v16, 0xbf3504f3, v17
	v_fma_f32 v20, v4, 2.0, -v18
	v_fma_f32 v6, v6, 2.0, -v14
	v_dual_add_f32 v4, v18, v11 :: v_dual_sub_f32 v11, v19, v10
	v_fmac_f32_e32 v9, 0xbf3504f3, v16
	v_fmac_f32_e32 v8, 0x3f3504f3, v12
	s_delay_alu instid0(VALU_DEP_4)
	v_sub_f32_e32 v10, v20, v6
	v_fma_f32 v7, v13, 2.0, -v5
	v_add_nc_u32_e32 v16, 0x400, v96
	v_fma_f32 v13, v15, 2.0, -v9
	v_fma_f32 v12, v17, 2.0, -v8
	;; [unrolled: 1-line block ×6, first 2 shown]
	v_add_nc_u32_e32 v17, 0x1200, v96
	v_add_nc_u32_e32 v18, 0x1f00, v96
	v_add_nc_u32_e32 v19, 0x2d00, v96
	ds_store_2addr_b64 v16, v[14:15], v[12:13] offset0:8 offset1:229
	ds_store_2addr_b64 v17, v[6:7], v[2:3] offset0:2 offset1:223
	;; [unrolled: 1-line block ×4, first 2 shown]
.LBB0_21:
	s_wait_alu 0xfffe
	s_or_b32 exec_lo, exec_lo, s1
	global_wb scope:SCOPE_SE
	s_wait_dscnt 0x0
	s_barrier_signal -1
	s_barrier_wait -1
	global_inv scope:SCOPE_SE
	s_and_b32 exec_lo, exec_lo, vcc_lo
	s_cbranch_execz .LBB0_23
; %bb.22:
	global_load_b64 v[0:1], v96, s[12:13]
	ds_load_b64 v[2:3], v96
	v_mad_co_u64_u32 v[6:7], null, s4, v97, 0
	s_mov_b32 s0, 0x1288b013
	s_mov_b32 s1, 0x3f4288b0
	s_mul_u64 s[2:3], s[4:5], 0x340
	s_wait_loadcnt_dscnt 0x0
	v_mul_f32_e32 v4, v3, v1
	v_mul_f32_e32 v1, v2, v1
	s_delay_alu instid0(VALU_DEP_2) | instskip(NEXT) | instid1(VALU_DEP_2)
	v_fmac_f32_e32 v4, v2, v0
	v_fma_f32 v2, v0, v3, -v1
	s_delay_alu instid0(VALU_DEP_2) | instskip(NEXT) | instid1(VALU_DEP_2)
	v_cvt_f64_f32_e32 v[0:1], v4
	v_cvt_f64_f32_e32 v[2:3], v2
	v_mad_co_u64_u32 v[4:5], null, s6, v88, 0
	s_wait_alu 0xfffe
	s_delay_alu instid0(VALU_DEP_3) | instskip(NEXT) | instid1(VALU_DEP_3)
	v_mul_f64_e32 v[0:1], s[0:1], v[0:1]
	v_mul_f64_e32 v[2:3], s[0:1], v[2:3]
	s_delay_alu instid0(VALU_DEP_2) | instskip(NEXT) | instid1(VALU_DEP_2)
	v_cvt_f32_f64_e32 v0, v[0:1]
	v_cvt_f32_f64_e32 v1, v[2:3]
	v_dual_mov_b32 v3, v7 :: v_dual_mov_b32 v2, v5
	s_delay_alu instid0(VALU_DEP_1) | instskip(SKIP_1) | instid1(VALU_DEP_2)
	v_mad_co_u64_u32 v[7:8], null, s7, v88, v[2:3]
	v_mad_co_u64_u32 v[2:3], null, s5, v97, v[3:4]
	v_mov_b32_e32 v5, v7
	s_delay_alu instid0(VALU_DEP_2) | instskip(NEXT) | instid1(VALU_DEP_2)
	v_mov_b32_e32 v7, v2
	v_lshlrev_b64_e32 v[2:3], 3, v[4:5]
	s_delay_alu instid0(VALU_DEP_2) | instskip(NEXT) | instid1(VALU_DEP_2)
	v_lshlrev_b64_e32 v[4:5], 3, v[6:7]
	v_add_co_u32 v8, vcc_lo, s14, v2
	s_delay_alu instid0(VALU_DEP_3) | instskip(NEXT) | instid1(VALU_DEP_2)
	v_add_co_ci_u32_e32 v9, vcc_lo, s15, v3, vcc_lo
	v_add_co_u32 v4, vcc_lo, v8, v4
	s_wait_alu 0xfffd
	s_delay_alu instid0(VALU_DEP_2)
	v_add_co_ci_u32_e32 v5, vcc_lo, v9, v5, vcc_lo
	global_store_b64 v[4:5], v[0:1], off
	global_load_b64 v[6:7], v96, s[12:13] offset:832
	ds_load_2addr_b64 v[0:3], v96 offset0:104 offset1:208
	v_add_co_u32 v4, vcc_lo, v4, s2
	s_wait_alu 0xfffd
	v_add_co_ci_u32_e32 v5, vcc_lo, s3, v5, vcc_lo
	s_wait_loadcnt_dscnt 0x0
	v_mul_f32_e32 v10, v1, v7
	v_mul_f32_e32 v7, v0, v7
	s_delay_alu instid0(VALU_DEP_2) | instskip(NEXT) | instid1(VALU_DEP_2)
	v_fmac_f32_e32 v10, v0, v6
	v_fma_f32 v6, v6, v1, -v7
	s_delay_alu instid0(VALU_DEP_2) | instskip(NEXT) | instid1(VALU_DEP_2)
	v_cvt_f64_f32_e32 v[0:1], v10
	v_cvt_f64_f32_e32 v[6:7], v6
	s_delay_alu instid0(VALU_DEP_2) | instskip(NEXT) | instid1(VALU_DEP_2)
	v_mul_f64_e32 v[0:1], s[0:1], v[0:1]
	v_mul_f64_e32 v[6:7], s[0:1], v[6:7]
	s_delay_alu instid0(VALU_DEP_2) | instskip(NEXT) | instid1(VALU_DEP_2)
	v_cvt_f32_f64_e32 v0, v[0:1]
	v_cvt_f32_f64_e32 v1, v[6:7]
	global_store_b64 v[4:5], v[0:1], off
	global_load_b64 v[0:1], v96, s[12:13] offset:1664
	v_add_co_u32 v4, vcc_lo, v4, s2
	s_wait_alu 0xfffd
	v_add_co_ci_u32_e32 v5, vcc_lo, s3, v5, vcc_lo
	s_wait_loadcnt 0x0
	v_mul_f32_e32 v6, v3, v1
	v_mul_f32_e32 v1, v2, v1
	s_delay_alu instid0(VALU_DEP_2) | instskip(NEXT) | instid1(VALU_DEP_2)
	v_fmac_f32_e32 v6, v2, v0
	v_fma_f32 v2, v0, v3, -v1
	s_delay_alu instid0(VALU_DEP_2) | instskip(NEXT) | instid1(VALU_DEP_2)
	v_cvt_f64_f32_e32 v[0:1], v6
	v_cvt_f64_f32_e32 v[2:3], v2
	s_delay_alu instid0(VALU_DEP_2) | instskip(NEXT) | instid1(VALU_DEP_2)
	v_mul_f64_e32 v[0:1], s[0:1], v[0:1]
	v_mul_f64_e32 v[2:3], s[0:1], v[2:3]
	s_delay_alu instid0(VALU_DEP_2) | instskip(NEXT) | instid1(VALU_DEP_2)
	v_cvt_f32_f64_e32 v0, v[0:1]
	v_cvt_f32_f64_e32 v1, v[2:3]
	global_store_b64 v[4:5], v[0:1], off
	global_load_b64 v[6:7], v96, s[12:13] offset:2496
	v_add_nc_u32_e32 v0, 0x800, v96
	v_add_co_u32 v4, vcc_lo, v4, s2
	s_wait_alu 0xfffd
	v_add_co_ci_u32_e32 v5, vcc_lo, s3, v5, vcc_lo
	ds_load_2addr_b64 v[0:3], v0 offset0:56 offset1:160
	s_wait_loadcnt_dscnt 0x0
	v_mul_f32_e32 v10, v1, v7
	v_mul_f32_e32 v7, v0, v7
	s_delay_alu instid0(VALU_DEP_2) | instskip(NEXT) | instid1(VALU_DEP_2)
	v_fmac_f32_e32 v10, v0, v6
	v_fma_f32 v6, v6, v1, -v7
	s_delay_alu instid0(VALU_DEP_2) | instskip(NEXT) | instid1(VALU_DEP_2)
	v_cvt_f64_f32_e32 v[0:1], v10
	v_cvt_f64_f32_e32 v[6:7], v6
	s_delay_alu instid0(VALU_DEP_2) | instskip(NEXT) | instid1(VALU_DEP_2)
	v_mul_f64_e32 v[0:1], s[0:1], v[0:1]
	v_mul_f64_e32 v[6:7], s[0:1], v[6:7]
	s_delay_alu instid0(VALU_DEP_2) | instskip(NEXT) | instid1(VALU_DEP_2)
	v_cvt_f32_f64_e32 v0, v[0:1]
	v_cvt_f32_f64_e32 v1, v[6:7]
	global_store_b64 v[4:5], v[0:1], off
	global_load_b64 v[0:1], v96, s[12:13] offset:3328
	v_add_co_u32 v4, vcc_lo, v4, s2
	s_wait_alu 0xfffd
	v_add_co_ci_u32_e32 v5, vcc_lo, s3, v5, vcc_lo
	s_wait_loadcnt 0x0
	v_mul_f32_e32 v6, v3, v1
	v_mul_f32_e32 v1, v2, v1
	s_delay_alu instid0(VALU_DEP_2) | instskip(NEXT) | instid1(VALU_DEP_2)
	v_fmac_f32_e32 v6, v2, v0
	v_fma_f32 v2, v0, v3, -v1
	s_delay_alu instid0(VALU_DEP_2) | instskip(NEXT) | instid1(VALU_DEP_2)
	v_cvt_f64_f32_e32 v[0:1], v6
	v_cvt_f64_f32_e32 v[2:3], v2
	s_delay_alu instid0(VALU_DEP_2) | instskip(NEXT) | instid1(VALU_DEP_2)
	v_mul_f64_e32 v[0:1], s[0:1], v[0:1]
	v_mul_f64_e32 v[2:3], s[0:1], v[2:3]
	s_delay_alu instid0(VALU_DEP_2) | instskip(NEXT) | instid1(VALU_DEP_2)
	v_cvt_f32_f64_e32 v0, v[0:1]
	v_cvt_f32_f64_e32 v1, v[2:3]
	global_store_b64 v[4:5], v[0:1], off
	global_load_b64 v[6:7], v96, s[12:13] offset:4160
	v_add_nc_u32_e32 v0, 0x1000, v96
	v_add_co_u32 v4, vcc_lo, v4, s2
	s_wait_alu 0xfffd
	v_add_co_ci_u32_e32 v5, vcc_lo, s3, v5, vcc_lo
	ds_load_2addr_b64 v[0:3], v0 offset0:8 offset1:112
	;; [unrolled: 42-line block ×7, first 2 shown]
	s_wait_loadcnt_dscnt 0x0
	v_mul_f32_e32 v10, v1, v7
	v_mul_f32_e32 v7, v0, v7
	s_delay_alu instid0(VALU_DEP_2) | instskip(NEXT) | instid1(VALU_DEP_2)
	v_fmac_f32_e32 v10, v0, v6
	v_fma_f32 v6, v6, v1, -v7
	s_delay_alu instid0(VALU_DEP_2) | instskip(NEXT) | instid1(VALU_DEP_2)
	v_cvt_f64_f32_e32 v[0:1], v10
	v_cvt_f64_f32_e32 v[6:7], v6
	s_delay_alu instid0(VALU_DEP_2) | instskip(NEXT) | instid1(VALU_DEP_2)
	v_mul_f64_e32 v[0:1], s[0:1], v[0:1]
	v_mul_f64_e32 v[6:7], s[0:1], v[6:7]
	s_delay_alu instid0(VALU_DEP_2) | instskip(NEXT) | instid1(VALU_DEP_2)
	v_cvt_f32_f64_e32 v0, v[0:1]
	v_cvt_f32_f64_e32 v1, v[6:7]
	global_store_b64 v[4:5], v[0:1], off
	global_load_b64 v[0:1], v96, s[12:13] offset:13312
	s_wait_loadcnt 0x0
	v_mul_f32_e32 v4, v3, v1
	v_mul_f32_e32 v1, v2, v1
	s_delay_alu instid0(VALU_DEP_2) | instskip(NEXT) | instid1(VALU_DEP_2)
	v_fmac_f32_e32 v4, v2, v0
	v_fma_f32 v2, v0, v3, -v1
	s_delay_alu instid0(VALU_DEP_2) | instskip(NEXT) | instid1(VALU_DEP_2)
	v_cvt_f64_f32_e32 v[0:1], v4
	v_cvt_f64_f32_e32 v[2:3], v2
	v_mad_co_u64_u32 v[4:5], null, s4, v95, 0
	s_delay_alu instid0(VALU_DEP_3) | instskip(NEXT) | instid1(VALU_DEP_3)
	v_mul_f64_e32 v[0:1], s[0:1], v[0:1]
	v_mul_f64_e32 v[2:3], s[0:1], v[2:3]
	s_delay_alu instid0(VALU_DEP_2) | instskip(NEXT) | instid1(VALU_DEP_2)
	v_cvt_f32_f64_e32 v0, v[0:1]
	v_cvt_f32_f64_e32 v1, v[2:3]
	v_mov_b32_e32 v2, v5
	s_delay_alu instid0(VALU_DEP_1) | instskip(NEXT) | instid1(VALU_DEP_1)
	v_mad_co_u64_u32 v[2:3], null, s5, v95, v[2:3]
	v_mov_b32_e32 v5, v2
	s_delay_alu instid0(VALU_DEP_1) | instskip(NEXT) | instid1(VALU_DEP_1)
	v_lshlrev_b64_e32 v[2:3], 3, v[4:5]
	v_add_co_u32 v2, vcc_lo, v8, v2
	s_wait_alu 0xfffd
	s_delay_alu instid0(VALU_DEP_2)
	v_add_co_ci_u32_e32 v3, vcc_lo, v9, v3, vcc_lo
	global_store_b64 v[2:3], v[0:1], off
.LBB0_23:
	s_nop 0
	s_sendmsg sendmsg(MSG_DEALLOC_VGPRS)
	s_endpgm
	.section	.rodata,"a",@progbits
	.p2align	6, 0x0
	.amdhsa_kernel bluestein_single_back_len1768_dim1_sp_op_CI_CI
		.amdhsa_group_segment_fixed_size 14144
		.amdhsa_private_segment_fixed_size 0
		.amdhsa_kernarg_size 104
		.amdhsa_user_sgpr_count 2
		.amdhsa_user_sgpr_dispatch_ptr 0
		.amdhsa_user_sgpr_queue_ptr 0
		.amdhsa_user_sgpr_kernarg_segment_ptr 1
		.amdhsa_user_sgpr_dispatch_id 0
		.amdhsa_user_sgpr_private_segment_size 0
		.amdhsa_wavefront_size32 1
		.amdhsa_uses_dynamic_stack 0
		.amdhsa_enable_private_segment 0
		.amdhsa_system_sgpr_workgroup_id_x 1
		.amdhsa_system_sgpr_workgroup_id_y 0
		.amdhsa_system_sgpr_workgroup_id_z 0
		.amdhsa_system_sgpr_workgroup_info 0
		.amdhsa_system_vgpr_workitem_id 0
		.amdhsa_next_free_vgpr 208
		.amdhsa_next_free_sgpr 16
		.amdhsa_reserve_vcc 1
		.amdhsa_float_round_mode_32 0
		.amdhsa_float_round_mode_16_64 0
		.amdhsa_float_denorm_mode_32 3
		.amdhsa_float_denorm_mode_16_64 3
		.amdhsa_fp16_overflow 0
		.amdhsa_workgroup_processor_mode 1
		.amdhsa_memory_ordered 1
		.amdhsa_forward_progress 0
		.amdhsa_round_robin_scheduling 0
		.amdhsa_exception_fp_ieee_invalid_op 0
		.amdhsa_exception_fp_denorm_src 0
		.amdhsa_exception_fp_ieee_div_zero 0
		.amdhsa_exception_fp_ieee_overflow 0
		.amdhsa_exception_fp_ieee_underflow 0
		.amdhsa_exception_fp_ieee_inexact 0
		.amdhsa_exception_int_div_zero 0
	.end_amdhsa_kernel
	.text
.Lfunc_end0:
	.size	bluestein_single_back_len1768_dim1_sp_op_CI_CI, .Lfunc_end0-bluestein_single_back_len1768_dim1_sp_op_CI_CI
                                        ; -- End function
	.section	.AMDGPU.csdata,"",@progbits
; Kernel info:
; codeLenInByte = 25716
; NumSgprs: 18
; NumVgprs: 208
; ScratchSize: 0
; MemoryBound: 0
; FloatMode: 240
; IeeeMode: 1
; LDSByteSize: 14144 bytes/workgroup (compile time only)
; SGPRBlocks: 2
; VGPRBlocks: 25
; NumSGPRsForWavesPerEU: 18
; NumVGPRsForWavesPerEU: 208
; Occupancy: 7
; WaveLimiterHint : 1
; COMPUTE_PGM_RSRC2:SCRATCH_EN: 0
; COMPUTE_PGM_RSRC2:USER_SGPR: 2
; COMPUTE_PGM_RSRC2:TRAP_HANDLER: 0
; COMPUTE_PGM_RSRC2:TGID_X_EN: 1
; COMPUTE_PGM_RSRC2:TGID_Y_EN: 0
; COMPUTE_PGM_RSRC2:TGID_Z_EN: 0
; COMPUTE_PGM_RSRC2:TIDIG_COMP_CNT: 0
	.text
	.p2alignl 7, 3214868480
	.fill 96, 4, 3214868480
	.type	__hip_cuid_ac4a20456e3ddd70,@object ; @__hip_cuid_ac4a20456e3ddd70
	.section	.bss,"aw",@nobits
	.globl	__hip_cuid_ac4a20456e3ddd70
__hip_cuid_ac4a20456e3ddd70:
	.byte	0                               ; 0x0
	.size	__hip_cuid_ac4a20456e3ddd70, 1

	.ident	"AMD clang version 19.0.0git (https://github.com/RadeonOpenCompute/llvm-project roc-6.4.0 25133 c7fe45cf4b819c5991fe208aaa96edf142730f1d)"
	.section	".note.GNU-stack","",@progbits
	.addrsig
	.addrsig_sym __hip_cuid_ac4a20456e3ddd70
	.amdgpu_metadata
---
amdhsa.kernels:
  - .args:
      - .actual_access:  read_only
        .address_space:  global
        .offset:         0
        .size:           8
        .value_kind:     global_buffer
      - .actual_access:  read_only
        .address_space:  global
        .offset:         8
        .size:           8
        .value_kind:     global_buffer
      - .actual_access:  read_only
        .address_space:  global
        .offset:         16
        .size:           8
        .value_kind:     global_buffer
      - .actual_access:  read_only
        .address_space:  global
        .offset:         24
        .size:           8
        .value_kind:     global_buffer
      - .actual_access:  read_only
        .address_space:  global
        .offset:         32
        .size:           8
        .value_kind:     global_buffer
      - .offset:         40
        .size:           8
        .value_kind:     by_value
      - .address_space:  global
        .offset:         48
        .size:           8
        .value_kind:     global_buffer
      - .address_space:  global
        .offset:         56
        .size:           8
        .value_kind:     global_buffer
      - .address_space:  global
        .offset:         64
        .size:           8
        .value_kind:     global_buffer
      - .address_space:  global
        .offset:         72
        .size:           8
        .value_kind:     global_buffer
      - .offset:         80
        .size:           4
        .value_kind:     by_value
      - .address_space:  global
        .offset:         88
        .size:           8
        .value_kind:     global_buffer
      - .address_space:  global
        .offset:         96
        .size:           8
        .value_kind:     global_buffer
    .group_segment_fixed_size: 14144
    .kernarg_segment_align: 8
    .kernarg_segment_size: 104
    .language:       OpenCL C
    .language_version:
      - 2
      - 0
    .max_flat_workgroup_size: 136
    .name:           bluestein_single_back_len1768_dim1_sp_op_CI_CI
    .private_segment_fixed_size: 0
    .sgpr_count:     18
    .sgpr_spill_count: 0
    .symbol:         bluestein_single_back_len1768_dim1_sp_op_CI_CI.kd
    .uniform_work_group_size: 1
    .uses_dynamic_stack: false
    .vgpr_count:     208
    .vgpr_spill_count: 0
    .wavefront_size: 32
    .workgroup_processor_mode: 1
amdhsa.target:   amdgcn-amd-amdhsa--gfx1201
amdhsa.version:
  - 1
  - 2
...

	.end_amdgpu_metadata
